;; amdgpu-corpus repo=ROCm/rocFFT kind=compiled arch=gfx950 opt=O3
	.text
	.amdgcn_target "amdgcn-amd-amdhsa--gfx950"
	.amdhsa_code_object_version 6
	.protected	bluestein_single_back_len2916_dim1_dp_op_CI_CI ; -- Begin function bluestein_single_back_len2916_dim1_dp_op_CI_CI
	.globl	bluestein_single_back_len2916_dim1_dp_op_CI_CI
	.p2align	8
	.type	bluestein_single_back_len2916_dim1_dp_op_CI_CI,@function
bluestein_single_back_len2916_dim1_dp_op_CI_CI: ; @bluestein_single_back_len2916_dim1_dp_op_CI_CI
; %bb.0:
	s_load_dwordx4 s[12:15], s[0:1], 0x28
	v_mul_u32_u24_e32 v1, 0x10e, v0
	v_add_u32_sdwa v28, s2, v1 dst_sel:DWORD dst_unused:UNUSED_PAD src0_sel:DWORD src1_sel:WORD_1
	v_mov_b32_e32 v29, 0
	s_waitcnt lgkmcnt(0)
	v_cmp_gt_u64_e32 vcc, s[12:13], v[28:29]
	s_and_saveexec_b64 s[2:3], vcc
	s_cbranch_execz .LBB0_2
; %bb.1:
	s_load_dwordx4 s[4:7], s[0:1], 0x0
	s_load_dwordx4 s[8:11], s[0:1], 0x18
	s_load_dwordx2 s[2:3], s[0:1], 0x38
	v_mov_b32_e32 v2, s14
	v_mov_b32_e32 v3, s15
	;; [unrolled: 1-line block ×3, first 2 shown]
	s_movk_i32 s14, 0xffaf
	s_waitcnt lgkmcnt(0)
	v_mov_b32_e32 v4, s2
	v_mov_b32_e32 v5, s3
	s_load_dwordx4 s[0:3], s[10:11], 0x0
	v_accvgpr_write_b32 a0, v4
	v_accvgpr_write_b32 a1, v5
	s_mov_b32 s15, -1
	s_waitcnt lgkmcnt(0)
	v_mad_u64_u32 v[6:7], s[10:11], s2, v28, 0
	s_load_dwordx4 s[8:11], s[8:9], 0x0
	v_mov_b32_e32 v4, v7
	v_mad_u64_u32 v[4:5], s[2:3], s3, v28, v[4:5]
	v_mov_b32_e32 v7, v4
	v_accvgpr_write_b32 a2, v6
	s_waitcnt lgkmcnt(0)
	v_mad_u64_u32 v[4:5], s[2:3], s10, v28, 0
	v_accvgpr_write_b32 a3, v7
	v_mov_b32_e32 v6, v5
	v_mad_u64_u32 v[6:7], s[2:3], s11, v28, v[6:7]
	s_movk_i32 s2, 0xf3
	s_nop 0
	v_mul_lo_u16_sdwa v1, v1, s2 dst_sel:DWORD dst_unused:UNUSED_PAD src0_sel:WORD_1 src1_sel:DWORD
	v_sub_u16_e32 v32, v0, v1
	s_mov_b32 s2, 0
	v_mov_b32_e32 v33, s2
	v_mad_u64_u32 v[0:1], s[2:3], s8, v32, 0
	v_mov_b32_e32 v5, v6
	v_mov_b32_e32 v6, v1
	v_mad_u64_u32 v[6:7], s[2:3], s9, v32, v[6:7]
	v_mov_b32_e32 v1, v6
	v_lshl_add_u64 v[2:3], v[4:5], 4, v[2:3]
	v_lshl_add_u64 v[12:13], v[0:1], 4, v[2:3]
	v_lshlrev_b32_e32 v28, 4, v32
	global_load_dwordx4 v[0:3], v[12:13], off
	global_load_dwordx4 v[14:17], v28, s[4:5]
	s_mov_b64 s[2:3], 0x1e6
	v_lshl_add_u64 v[10:11], s[4:5], 0, v[28:29]
	v_lshl_add_u64 v[248:249], v[32:33], 0, s[2:3]
	v_mad_u64_u32 v[12:13], s[2:3], s8, v35, v[12:13]
	s_movk_i32 s11, 0x1000
	s_mul_i32 s2, s9, 0x1e60
	v_add_u32_e32 v13, s2, v13
	s_movk_i32 s10, 0x3000
	s_movk_i32 s3, 0x5000
	s_waitcnt vmcnt(0)
	v_accvgpr_write_b32 a8, v14
	v_mul_f64 v[4:5], v[2:3], v[16:17]
	v_fmac_f64_e32 v[4:5], v[0:1], v[14:15]
	v_mul_f64 v[0:1], v[0:1], v[16:17]
	v_fma_f64 v[6:7], v[2:3], v[14:15], -v[0:1]
	ds_write_b128 v28, v[4:7]
	v_add_co_u32_e32 v4, vcc, s11, v10
	v_accvgpr_write_b32 a9, v15
	s_nop 0
	v_addc_co_u32_e32 v5, vcc, 0, v11, vcc
	v_accvgpr_write_b32 a10, v16
	v_accvgpr_write_b32 a11, v17
	global_load_dwordx4 v[0:3], v[12:13], off
	global_load_dwordx4 v[14:17], v[4:5], off offset:3680
	v_mad_u64_u32 v[12:13], s[12:13], s8, v35, v[12:13]
	v_add_u32_e32 v13, s2, v13
	s_waitcnt vmcnt(0)
	v_mul_f64 v[4:5], v[2:3], v[16:17]
	v_fmac_f64_e32 v[4:5], v[0:1], v[14:15]
	v_mul_f64 v[0:1], v[0:1], v[16:17]
	v_fma_f64 v[6:7], v[2:3], v[14:15], -v[0:1]
	ds_write_b128 v28, v[4:7] offset:7776
	v_add_co_u32_e32 v4, vcc, s10, v10
	v_accvgpr_write_b32 a12, v14
	s_nop 0
	v_addc_co_u32_e32 v5, vcc, 0, v11, vcc
	v_accvgpr_write_b32 a13, v15
	v_accvgpr_write_b32 a14, v16
	;; [unrolled: 1-line block ×3, first 2 shown]
	global_load_dwordx4 v[0:3], v[12:13], off
	global_load_dwordx4 v[14:17], v[4:5], off offset:3264
	v_mad_u64_u32 v[12:13], s[12:13], s8, v35, v[12:13]
	v_add_u32_e32 v13, s2, v13
	s_waitcnt vmcnt(0)
	v_mul_f64 v[4:5], v[2:3], v[16:17]
	v_fmac_f64_e32 v[4:5], v[0:1], v[14:15]
	v_mul_f64 v[0:1], v[0:1], v[16:17]
	v_fma_f64 v[6:7], v[2:3], v[14:15], -v[0:1]
	ds_write_b128 v28, v[4:7] offset:15552
	v_add_co_u32_e32 v4, vcc, s3, v10
	v_accvgpr_write_b32 a19, v17
	s_nop 0
	v_addc_co_u32_e32 v5, vcc, 0, v11, vcc
	v_accvgpr_write_b32 a18, v16
	v_accvgpr_write_b32 a17, v15
	;; [unrolled: 1-line block ×3, first 2 shown]
	global_load_dwordx4 v[0:3], v[12:13], off
	global_load_dwordx4 v[14:17], v[4:5], off offset:2848
	s_movk_i32 s3, 0x7000
	v_mad_u64_u32 v[12:13], s[12:13], s8, v35, v[12:13]
	v_add_u32_e32 v13, s2, v13
	s_waitcnt vmcnt(0)
	v_mul_f64 v[4:5], v[2:3], v[16:17]
	v_fmac_f64_e32 v[4:5], v[0:1], v[14:15]
	v_mul_f64 v[0:1], v[0:1], v[16:17]
	v_fma_f64 v[6:7], v[2:3], v[14:15], -v[0:1]
	ds_write_b128 v28, v[4:7] offset:23328
	v_add_co_u32_e32 v4, vcc, s3, v10
	v_accvgpr_write_b32 a23, v17
	s_nop 0
	v_addc_co_u32_e32 v5, vcc, 0, v11, vcc
	v_accvgpr_write_b32 a22, v16
	v_accvgpr_write_b32 a21, v15
	;; [unrolled: 1-line block ×3, first 2 shown]
	global_load_dwordx4 v[0:3], v[12:13], off
	global_load_dwordx4 v[14:17], v[4:5], off offset:2432
	s_mov_b32 s3, 0x9000
	v_mad_u64_u32 v[12:13], s[12:13], s8, v35, v[12:13]
	v_add_u32_e32 v13, s2, v13
	s_mov_b64 s[12:13], 0xf3
	v_lshl_add_u64 v[242:243], v[32:33], 0, s[12:13]
	s_waitcnt vmcnt(0)
	v_mul_f64 v[4:5], v[2:3], v[16:17]
	v_fmac_f64_e32 v[4:5], v[0:1], v[14:15]
	v_mul_f64 v[0:1], v[0:1], v[16:17]
	v_fma_f64 v[6:7], v[2:3], v[14:15], -v[0:1]
	ds_write_b128 v28, v[4:7] offset:31104
	v_add_co_u32_e32 v4, vcc, s3, v10
	v_accvgpr_write_b32 a27, v17
	s_nop 0
	v_addc_co_u32_e32 v5, vcc, 0, v11, vcc
	v_accvgpr_write_b32 a26, v16
	v_accvgpr_write_b32 a25, v15
	;; [unrolled: 1-line block ×3, first 2 shown]
	global_load_dwordx4 v[0:3], v[12:13], off
	global_load_dwordx4 v[14:17], v[4:5], off offset:2016
	s_mul_i32 s3, s9, 0xffff7750
	s_sub_i32 s3, s3, s8
	s_waitcnt vmcnt(0)
	v_mul_f64 v[4:5], v[2:3], v[16:17]
	v_fmac_f64_e32 v[4:5], v[0:1], v[14:15]
	v_mul_f64 v[0:1], v[0:1], v[16:17]
	v_fma_f64 v[6:7], v[2:3], v[14:15], -v[0:1]
	v_mov_b32_e32 v0, 0xffff7750
	v_mad_u64_u32 v[12:13], s[12:13], s8, v0, v[12:13]
	v_accvgpr_write_b32 a31, v17
	ds_write_b128 v28, v[4:7] offset:38880
	v_add_u32_e32 v13, s3, v13
	v_accvgpr_write_b32 a30, v16
	v_accvgpr_write_b32 a29, v15
	v_accvgpr_write_b32 a28, v14
	global_load_dwordx4 v[0:3], v[12:13], off
	global_load_dwordx4 v[14:17], v28, s[4:5] offset:3888
	s_mov_b64 s[4:5], 0x2d9
	s_movk_i32 s3, 0x2000
	v_lshl_add_u64 v[252:253], v[32:33], 0, s[4:5]
	v_mad_u64_u32 v[12:13], s[4:5], s8, v35, v[12:13]
	v_add_u32_e32 v13, s2, v13
	s_movk_i32 s12, 0x50
	s_movk_i32 s13, 0x51
	s_waitcnt vmcnt(0)
	v_mul_f64 v[4:5], v[2:3], v[16:17]
	v_fmac_f64_e32 v[4:5], v[0:1], v[14:15]
	v_mul_f64 v[0:1], v[0:1], v[16:17]
	v_fma_f64 v[6:7], v[2:3], v[14:15], -v[0:1]
	ds_write_b128 v28, v[4:7] offset:3888
	v_add_co_u32_e32 v4, vcc, s3, v10
	v_accvgpr_write_b32 a35, v17
	s_nop 0
	v_addc_co_u32_e32 v5, vcc, 0, v11, vcc
	v_accvgpr_write_b32 a34, v16
	v_accvgpr_write_b32 a33, v15
	;; [unrolled: 1-line block ×3, first 2 shown]
	global_load_dwordx4 v[0:3], v[12:13], off
	global_load_dwordx4 v[14:17], v[4:5], off offset:3472
	s_movk_i32 s3, 0x4000
	v_mad_u64_u32 v[12:13], s[4:5], s8, v35, v[12:13]
	v_add_u32_e32 v13, s2, v13
	s_waitcnt vmcnt(0)
	v_mul_f64 v[4:5], v[2:3], v[16:17]
	v_fmac_f64_e32 v[4:5], v[0:1], v[14:15]
	v_mul_f64 v[0:1], v[0:1], v[16:17]
	v_fma_f64 v[6:7], v[2:3], v[14:15], -v[0:1]
	ds_write_b128 v28, v[4:7] offset:11664
	v_add_co_u32_e32 v4, vcc, s3, v10
	v_accvgpr_write_b32 a39, v17
	s_nop 0
	v_addc_co_u32_e32 v5, vcc, 0, v11, vcc
	v_accvgpr_write_b32 a38, v16
	v_accvgpr_write_b32 a37, v15
	;; [unrolled: 1-line block ×3, first 2 shown]
	global_load_dwordx4 v[0:3], v[12:13], off
	global_load_dwordx4 v[14:17], v[4:5], off offset:3056
	s_movk_i32 s3, 0x6000
	v_mad_u64_u32 v[12:13], s[4:5], s8, v35, v[12:13]
	v_add_u32_e32 v13, s2, v13
	s_waitcnt vmcnt(0)
	v_mul_f64 v[4:5], v[2:3], v[16:17]
	v_fmac_f64_e32 v[4:5], v[0:1], v[14:15]
	v_mul_f64 v[0:1], v[0:1], v[16:17]
	v_fma_f64 v[6:7], v[2:3], v[14:15], -v[0:1]
	ds_write_b128 v28, v[4:7] offset:19440
	v_add_co_u32_e32 v4, vcc, s3, v10
	global_load_dwordx4 v[0:3], v[12:13], off
	s_nop 0
	v_addc_co_u32_e32 v5, vcc, 0, v11, vcc
	global_load_dwordx4 v[40:43], v[4:5], off offset:2640
	s_mov_b32 s3, 0x8000
	v_mad_u64_u32 v[12:13], s[4:5], s8, v35, v[12:13]
	v_add_u32_e32 v13, s2, v13
	v_accvgpr_write_b32 a43, v17
	v_accvgpr_write_b32 a42, v16
	;; [unrolled: 1-line block ×4, first 2 shown]
	s_waitcnt vmcnt(0)
	v_mul_f64 v[4:5], v[2:3], v[42:43]
	v_fmac_f64_e32 v[4:5], v[0:1], v[40:41]
	v_mul_f64 v[0:1], v[0:1], v[42:43]
	v_fma_f64 v[6:7], v[2:3], v[40:41], -v[0:1]
	ds_write_b128 v28, v[4:7] offset:27216
	v_add_co_u32_e32 v4, vcc, s3, v10
	global_load_dwordx4 v[0:3], v[12:13], off
	s_nop 0
	v_addc_co_u32_e32 v5, vcc, 0, v11, vcc
	global_load_dwordx4 v[44:47], v[4:5], off offset:2224
	s_waitcnt vmcnt(0)
	v_mul_f64 v[4:5], v[2:3], v[46:47]
	v_fmac_f64_e32 v[4:5], v[0:1], v[44:45]
	v_mul_f64 v[0:1], v[0:1], v[46:47]
	v_fma_f64 v[6:7], v[2:3], v[44:45], -v[0:1]
	v_mad_u64_u32 v[0:1], s[4:5], s8, v35, v[12:13]
	v_add_u32_e32 v1, s2, v1
	s_mov_b32 s2, 0xa000
	ds_write_b128 v28, v[4:7] offset:34992
	v_add_co_u32_e32 v4, vcc, s2, v10
	global_load_dwordx4 v[0:3], v[0:1], off
	s_nop 0
	v_addc_co_u32_e32 v5, vcc, 0, v11, vcc
	global_load_dwordx4 v[4:7], v[4:5], off offset:1808
	s_mov_b32 s2, 0xe8584caa
	s_mov_b32 s3, 0x3febb67a
	;; [unrolled: 1-line block ×4, first 2 shown]
	s_movk_i32 s8, 0xab
	s_waitcnt vmcnt(0)
	v_mov_b64_e32 v[8:9], v[6:7]
	v_mov_b64_e32 v[6:7], v[4:5]
	v_mul_f64 v[4:5], v[2:3], v[8:9]
	v_mov_b64_e32 v[14:15], v[8:9]
	v_fmac_f64_e32 v[4:5], v[0:1], v[6:7]
	v_mul_f64 v[0:1], v[0:1], v[8:9]
	v_mov_b64_e32 v[12:13], v[6:7]
	v_fma_f64 v[6:7], v[2:3], v[12:13], -v[0:1]
	v_accvgpr_write_b32 a4, v12
	ds_write_b128 v28, v[4:7] offset:42768
	s_waitcnt lgkmcnt(0)
	s_barrier
	ds_read_b128 v[0:3], v28
	ds_read_b128 v[4:7], v28 offset:7776
	ds_read_b128 v[16:19], v28 offset:15552
	;; [unrolled: 1-line block ×11, first 2 shown]
	s_waitcnt lgkmcnt(7)
	v_add_f64 v[20:21], v[16:17], v[52:53]
	v_accvgpr_write_b32 a5, v13
	v_accvgpr_write_b32 a6, v14
	;; [unrolled: 1-line block ×3, first 2 shown]
	v_add_f64 v[12:13], v[0:1], v[16:17]
	v_fmac_f64_e32 v[0:1], -0.5, v[20:21]
	v_add_f64 v[20:21], v[18:19], -v[54:55]
	v_fma_f64 v[26:27], s[2:3], v[20:21], v[0:1]
	v_fmac_f64_e32 v[0:1], s[4:5], v[20:21]
	v_add_f64 v[20:21], v[2:3], v[18:19]
	v_add_f64 v[18:19], v[18:19], v[54:55]
	v_add_f64 v[12:13], v[12:13], v[52:53]
	v_fmac_f64_e32 v[2:3], -0.5, v[18:19]
	v_add_f64 v[16:17], v[16:17], -v[52:53]
	s_waitcnt lgkmcnt(6)
	v_add_f64 v[52:53], v[48:49], v[56:57]
	v_fma_f64 v[18:19], s[4:5], v[16:17], v[2:3]
	v_fmac_f64_e32 v[2:3], s[2:3], v[16:17]
	v_add_f64 v[16:17], v[4:5], v[48:49]
	v_fmac_f64_e32 v[4:5], -0.5, v[52:53]
	v_add_f64 v[52:53], v[50:51], -v[58:59]
	v_add_f64 v[20:21], v[20:21], v[54:55]
	v_fma_f64 v[54:55], s[2:3], v[52:53], v[4:5]
	v_fmac_f64_e32 v[4:5], s[4:5], v[52:53]
	v_add_f64 v[52:53], v[6:7], v[50:51]
	v_add_f64 v[50:51], v[50:51], v[58:59]
	v_fmac_f64_e32 v[6:7], -0.5, v[50:51]
	v_add_f64 v[48:49], v[48:49], -v[56:57]
	v_add_f64 v[86:87], v[52:53], v[58:59]
	v_fma_f64 v[58:59], s[4:5], v[48:49], v[6:7]
	v_fmac_f64_e32 v[6:7], s[2:3], v[48:49]
	v_add_f64 v[16:17], v[16:17], v[56:57]
	v_mul_f64 v[92:93], v[6:7], -0.5
	v_add_f64 v[48:49], v[12:13], v[16:17]
	v_mul_f64 v[88:89], v[4:5], -0.5
	v_mul_f64 v[90:91], v[54:55], s[4:5]
	v_fmac_f64_e32 v[92:93], s[4:5], v[4:5]
	v_add_f64 v[4:5], v[12:13], -v[16:17]
	s_waitcnt lgkmcnt(1)
	v_add_f64 v[16:17], v[68:69], v[76:77]
	v_mul_f64 v[84:85], v[58:59], s[2:3]
	v_fmac_f64_e32 v[88:89], s[2:3], v[6:7]
	v_add_f64 v[50:51], v[20:21], v[86:87]
	v_fmac_f64_e32 v[90:91], 0.5, v[58:59]
	v_add_f64 v[6:7], v[20:21], -v[86:87]
	v_add_f64 v[12:13], v[60:61], v[68:69]
	v_fmac_f64_e32 v[60:61], -0.5, v[16:17]
	v_add_f64 v[16:17], v[70:71], -v[78:79]
	v_add_f64 v[20:21], v[70:71], v[78:79]
	v_fmac_f64_e32 v[84:85], 0.5, v[54:55]
	v_add_f64 v[54:55], v[18:19], v[90:91]
	v_add_f64 v[86:87], v[18:19], -v[90:91]
	v_fma_f64 v[18:19], s[2:3], v[16:17], v[60:61]
	v_fmac_f64_e32 v[60:61], s[4:5], v[16:17]
	v_add_f64 v[16:17], v[62:63], v[70:71]
	v_fmac_f64_e32 v[62:63], -0.5, v[20:21]
	v_add_f64 v[20:21], v[68:69], -v[76:77]
	s_waitcnt lgkmcnt(0)
	v_add_f64 v[68:69], v[72:73], v[80:81]
	v_mul_lo_u16_e32 v8, 6, v32
	v_add_f64 v[52:53], v[26:27], v[84:85]
	v_add_f64 v[56:57], v[0:1], v[88:89]
	v_add_f64 v[84:85], v[26:27], -v[84:85]
	v_add_f64 v[0:1], v[0:1], -v[88:89]
	v_fma_f64 v[26:27], s[4:5], v[20:21], v[62:63]
	v_fmac_f64_e32 v[62:63], s[2:3], v[20:21]
	v_add_f64 v[20:21], v[64:65], v[72:73]
	v_fmac_f64_e32 v[64:65], -0.5, v[68:69]
	v_add_f64 v[68:69], v[74:75], -v[82:83]
	v_lshlrev_b32_e32 v37, 4, v8
	v_add_f64 v[58:59], v[2:3], v[92:93]
	v_add_f64 v[2:3], v[2:3], -v[92:93]
	v_add_f64 v[16:17], v[16:17], v[78:79]
	v_fma_f64 v[78:79], s[2:3], v[68:69], v[64:65]
	v_fmac_f64_e32 v[64:65], s[4:5], v[68:69]
	v_add_f64 v[68:69], v[66:67], v[74:75]
	s_barrier
	ds_write_b128 v37, v[48:51]
	ds_write_b128 v37, v[52:55] offset:16
	ds_write_b128 v37, v[56:59] offset:32
	;; [unrolled: 1-line block ×5, first 2 shown]
	v_mul_u32_u24_e32 v0, 6, v242
	v_add_f64 v[88:89], v[68:69], v[82:83]
	v_add_f64 v[68:69], v[74:75], v[82:83]
	v_lshlrev_b32_e32 v36, 4, v0
	v_mul_lo_u16_sdwa v0, v32, s8 dst_sel:DWORD dst_unused:UNUSED_PAD src0_sel:BYTE_0 src1_sel:DWORD
	v_fmac_f64_e32 v[66:67], -0.5, v[68:69]
	v_add_f64 v[68:69], v[72:73], -v[80:81]
	v_lshrrev_b16_e32 v15, 10, v0
	v_fma_f64 v[74:75], s[4:5], v[68:69], v[66:67]
	v_fmac_f64_e32 v[66:67], s[2:3], v[68:69]
	v_mul_lo_u16_e32 v0, 6, v15
	v_add_f64 v[20:21], v[20:21], v[80:81]
	v_mul_f64 v[80:81], v[74:75], s[2:3]
	v_mul_f64 v[82:83], v[64:65], -0.5
	v_mul_f64 v[90:91], v[78:79], s[4:5]
	v_mul_f64 v[92:93], v[66:67], -0.5
	v_sub_u16_e32 v0, v32, v0
	v_add_f64 v[12:13], v[12:13], v[76:77]
	v_fmac_f64_e32 v[80:81], 0.5, v[78:79]
	v_fmac_f64_e32 v[82:83], s[2:3], v[66:67]
	v_add_f64 v[70:71], v[16:17], v[88:89]
	v_fmac_f64_e32 v[90:91], 0.5, v[74:75]
	v_fmac_f64_e32 v[92:93], s[4:5], v[64:65]
	v_add_f64 v[66:67], v[16:17], -v[88:89]
	v_and_b32_e32 v16, 0xff, v0
	v_mov_b64_e32 v[0:1], s[6:7]
	v_add_f64 v[68:69], v[12:13], v[20:21]
	v_add_f64 v[72:73], v[18:19], v[80:81]
	;; [unrolled: 1-line block ×5, first 2 shown]
	v_add_f64 v[64:65], v[12:13], -v[20:21]
	v_add_f64 v[60:61], v[60:61], -v[82:83]
	;; [unrolled: 1-line block ×3, first 2 shown]
	v_mad_u64_u32 v[12:13], s[8:9], v16, s12, v[0:1]
	v_add_f64 v[80:81], v[18:19], -v[80:81]
	v_add_f64 v[82:83], v[26:27], -v[90:91]
	ds_write_b128 v36, v[68:71]
	ds_write_b128 v36, v[72:75] offset:16
	ds_write_b128 v36, v[76:79] offset:32
	;; [unrolled: 1-line block ×5, first 2 shown]
	s_waitcnt lgkmcnt(0)
	s_barrier
	ds_read_b128 v[92:95], v28
	ds_read_b128 v[2:5], v28 offset:7776
	ds_read_b128 v[60:63], v28 offset:15552
	;; [unrolled: 1-line block ×11, first 2 shown]
	global_load_dwordx4 v[48:51], v[12:13], off offset:48
	global_load_dwordx4 v[52:55], v[12:13], off offset:32
	;; [unrolled: 1-line block ×3, first 2 shown]
	global_load_dwordx4 v[64:67], v[12:13], off
	s_mov_b32 s8, 0xaaab
	v_mul_u32_u24_sdwa v8, v242, s8 dst_sel:DWORD dst_unused:UNUSED_PAD src0_sel:WORD_0 src1_sel:DWORD
	v_lshrrev_b32_e32 v17, 18, v8
	v_mul_lo_u16_e32 v8, 6, v17
	v_sub_u16_e32 v21, v242, v8
	v_mul_u32_u24_e32 v8, 36, v15
	v_add_lshl_u32 v34, v8, v16, 4
	v_mov_b32_e32 v8, 57
	v_mul_lo_u16_sdwa v8, v32, v8 dst_sel:DWORD dst_unused:UNUSED_PAD src0_sel:BYTE_0 src1_sel:DWORD
	v_lshrrev_b16_e32 v8, 11, v8
	v_mul_lo_u16_e32 v9, 36, v8
	v_sub_u16_e32 v9, v32, v9
	v_and_b32_e32 v9, 0xff, v9
	s_mov_b32 s8, 0xe38f
	v_mul_u32_u24_e32 v8, 0x6c, v8
	v_add_lshl_u32 v8, v8, v9, 4
	v_accvgpr_write_b32 a44, v8
	s_waitcnt vmcnt(3) lgkmcnt(7)
	v_mul_f64 v[26:27], v[74:75], v[50:51]
	s_waitcnt vmcnt(2)
	v_mul_f64 v[6:7], v[68:69], v[54:55]
	s_waitcnt vmcnt(1)
	;; [unrolled: 2-line block ×3, first 2 shown]
	v_mul_f64 v[0:1], v[4:5], v[66:67]
	v_fma_f64 v[0:1], v[2:3], v[64:65], -v[0:1]
	v_mul_f64 v[2:3], v[2:3], v[66:67]
	v_fmac_f64_e32 v[2:3], v[4:5], v[64:65]
	v_mul_f64 v[4:5], v[62:63], v[58:59]
	v_fma_f64 v[116:117], v[60:61], v[56:57], -v[4:5]
	v_fmac_f64_e32 v[118:119], v[62:63], v[56:57]
	global_load_dwordx4 v[60:63], v[12:13], off offset:64
	v_mul_f64 v[4:5], v[70:71], v[54:55]
	v_mul_f64 v[124:125], v[72:73], v[50:51]
	v_fma_f64 v[4:5], v[68:69], v[52:53], -v[4:5]
	v_fmac_f64_e32 v[6:7], v[70:71], v[52:53]
	v_fma_f64 v[122:123], v[72:73], v[48:49], -v[26:27]
	v_fmac_f64_e32 v[124:125], v[74:75], v[48:49]
	s_waitcnt vmcnt(0) lgkmcnt(6)
	v_mul_f64 v[12:13], v[78:79], v[62:63]
	v_fma_f64 v[112:113], v[76:77], v[60:61], -v[12:13]
	v_mul_lo_u16_e32 v12, 0x50, v21
	v_mov_b32_e32 v13, v29
	v_mul_f64 v[114:115], v[76:77], v[62:63]
	v_lshl_add_u64 v[12:13], s[6:7], 0, v[12:13]
	v_fmac_f64_e32 v[114:115], v[78:79], v[60:61]
	global_load_dwordx4 v[68:71], v[12:13], off offset:48
	global_load_dwordx4 v[72:75], v[12:13], off offset:32
	global_load_dwordx4 v[76:79], v[12:13], off offset:16
	global_load_dwordx4 v[80:83], v[12:13], off
	s_waitcnt vmcnt(1) lgkmcnt(3)
	v_mul_f64 v[126:127], v[104:105], v[78:79]
	s_waitcnt vmcnt(0)
	v_mul_f64 v[26:27], v[110:111], v[82:83]
	v_fma_f64 v[120:121], v[108:109], v[80:81], -v[26:27]
	v_mul_f64 v[108:109], v[108:109], v[82:83]
	v_mul_f64 v[26:27], v[106:107], v[78:79]
	v_fmac_f64_e32 v[108:109], v[110:111], v[80:81]
	v_fma_f64 v[110:111], v[104:105], v[76:77], -v[26:27]
	s_waitcnt lgkmcnt(2)
	v_mul_f64 v[26:27], v[102:103], v[74:75]
	v_fmac_f64_e32 v[126:127], v[106:107], v[76:77]
	v_fma_f64 v[104:105], v[100:101], v[72:73], -v[26:27]
	v_mul_f64 v[100:101], v[100:101], v[74:75]
	s_waitcnt lgkmcnt(1)
	v_mul_f64 v[26:27], v[90:91], v[70:71]
	v_mul_f64 v[106:107], v[88:89], v[70:71]
	v_fmac_f64_e32 v[100:101], v[102:103], v[72:73]
	v_fma_f64 v[102:103], v[88:89], v[68:69], -v[26:27]
	v_fmac_f64_e32 v[106:107], v[90:91], v[68:69]
	global_load_dwordx4 v[88:91], v[12:13], off offset:64
	s_waitcnt lgkmcnt(0)
	s_barrier
	s_waitcnt vmcnt(0)
	v_mul_f64 v[12:13], v[98:99], v[90:91]
	v_fma_f64 v[12:13], v[96:97], v[88:89], -v[12:13]
	v_mul_f64 v[26:27], v[96:97], v[90:91]
	v_add_f64 v[96:97], v[92:93], v[116:117]
	v_add_f64 v[128:129], v[96:97], v[122:123]
	;; [unrolled: 1-line block ×3, first 2 shown]
	v_fmac_f64_e32 v[92:93], -0.5, v[96:97]
	v_add_f64 v[96:97], v[118:119], -v[124:125]
	v_fma_f64 v[130:131], s[2:3], v[96:97], v[92:93]
	v_fmac_f64_e32 v[92:93], s[4:5], v[96:97]
	v_add_f64 v[96:97], v[94:95], v[118:119]
	v_add_f64 v[132:133], v[96:97], v[124:125]
	;; [unrolled: 1-line block ×3, first 2 shown]
	v_fmac_f64_e32 v[94:95], -0.5, v[96:97]
	v_add_f64 v[96:97], v[116:117], -v[122:123]
	v_fma_f64 v[118:119], s[4:5], v[96:97], v[94:95]
	v_fmac_f64_e32 v[94:95], s[2:3], v[96:97]
	v_add_f64 v[96:97], v[0:1], v[4:5]
	v_add_f64 v[116:117], v[96:97], v[112:113]
	;; [unrolled: 1-line block ×3, first 2 shown]
	v_fmac_f64_e32 v[0:1], -0.5, v[96:97]
	v_add_f64 v[96:97], v[6:7], -v[114:115]
	v_fmac_f64_e32 v[26:27], v[98:99], v[88:89]
	v_fma_f64 v[98:99], s[2:3], v[96:97], v[0:1]
	v_fmac_f64_e32 v[0:1], s[4:5], v[96:97]
	v_add_f64 v[96:97], v[2:3], v[6:7]
	v_add_f64 v[6:7], v[6:7], v[114:115]
	v_fmac_f64_e32 v[2:3], -0.5, v[6:7]
	v_add_f64 v[4:5], v[4:5], -v[112:113]
	v_add_f64 v[122:123], v[96:97], v[114:115]
	v_fma_f64 v[114:115], s[4:5], v[4:5], v[2:3]
	v_fmac_f64_e32 v[2:3], s[2:3], v[4:5]
	v_mul_f64 v[134:135], v[0:1], -0.5
	v_fmac_f64_e32 v[134:135], s[2:3], v[2:3]
	v_add_f64 v[6:7], v[132:133], v[122:123]
	v_mul_f64 v[138:139], v[2:3], -0.5
	v_add_f64 v[2:3], v[132:133], -v[122:123]
	v_add_f64 v[122:123], v[84:85], v[110:111]
	v_add_f64 v[4:5], v[128:129], v[116:117]
	v_mul_f64 v[124:125], v[114:115], s[2:3]
	v_fmac_f64_e32 v[138:139], s[4:5], v[0:1]
	v_add_f64 v[0:1], v[128:129], -v[116:117]
	v_add_f64 v[128:129], v[122:123], v[102:103]
	v_add_f64 v[122:123], v[110:111], v[102:103]
	v_fmac_f64_e32 v[124:125], 0.5, v[98:99]
	v_fmac_f64_e32 v[84:85], -0.5, v[122:123]
	v_add_f64 v[122:123], v[126:127], -v[106:107]
	v_add_f64 v[96:97], v[130:131], v[124:125]
	v_add_f64 v[116:117], v[130:131], -v[124:125]
	v_fma_f64 v[130:131], s[2:3], v[122:123], v[84:85]
	v_fmac_f64_e32 v[84:85], s[4:5], v[122:123]
	v_add_f64 v[122:123], v[86:87], v[126:127]
	v_add_f64 v[132:133], v[122:123], v[106:107]
	v_add_f64 v[106:107], v[126:127], v[106:107]
	v_fmac_f64_e32 v[86:87], -0.5, v[106:107]
	v_add_f64 v[102:103], v[110:111], -v[102:103]
	v_add_f64 v[112:113], v[92:93], v[134:135]
	v_add_f64 v[92:93], v[92:93], -v[134:135]
	v_fma_f64 v[134:135], s[4:5], v[102:103], v[86:87]
	v_fmac_f64_e32 v[86:87], s[2:3], v[102:103]
	v_add_f64 v[102:103], v[120:121], v[104:105]
	v_add_f64 v[110:111], v[102:103], v[12:13]
	v_add_f64 v[102:103], v[104:105], v[12:13]
	v_mul_f64 v[136:137], v[98:99], s[4:5]
	v_fmac_f64_e32 v[120:121], -0.5, v[102:103]
	v_add_f64 v[102:103], v[100:101], -v[26:27]
	v_fmac_f64_e32 v[136:137], 0.5, v[114:115]
	v_fma_f64 v[106:107], s[2:3], v[102:103], v[120:121]
	v_fmac_f64_e32 v[120:121], s[4:5], v[102:103]
	v_add_f64 v[102:103], v[108:109], v[100:101]
	v_add_f64 v[98:99], v[118:119], v[136:137]
	v_add_f64 v[118:119], v[118:119], -v[136:137]
	v_add_f64 v[136:137], v[102:103], v[26:27]
	v_add_f64 v[26:27], v[100:101], v[26:27]
	v_fmac_f64_e32 v[108:109], -0.5, v[26:27]
	v_add_f64 v[12:13], v[104:105], -v[12:13]
	v_fma_f64 v[26:27], s[4:5], v[12:13], v[108:109]
	v_fmac_f64_e32 v[108:109], s[2:3], v[12:13]
	v_mul_f64 v[140:141], v[106:107], s[4:5]
	v_add_f64 v[114:115], v[94:95], v[138:139]
	v_add_f64 v[94:95], v[94:95], -v[138:139]
	v_mul_f64 v[12:13], v[26:27], s[2:3]
	v_mul_f64 v[138:139], v[120:121], -0.5
	v_fmac_f64_e32 v[140:141], 0.5, v[26:27]
	v_mul_f64 v[26:27], v[108:109], -0.5
	v_fmac_f64_e32 v[12:13], 0.5, v[106:107]
	v_fmac_f64_e32 v[138:139], s[2:3], v[108:109]
	v_fmac_f64_e32 v[26:27], s[4:5], v[120:121]
	ds_write_b128 v34, v[4:7]
	ds_write_b128 v34, v[96:99] offset:96
	ds_write_b128 v34, v[112:115] offset:192
	;; [unrolled: 1-line block ×5, first 2 shown]
	v_mad_legacy_u16 v0, v17, 36, v21
	v_add_f64 v[100:101], v[128:129], v[110:111]
	v_add_f64 v[104:105], v[130:131], v[12:13]
	;; [unrolled: 1-line block ×6, first 2 shown]
	v_add_f64 v[108:109], v[128:129], -v[110:111]
	v_add_f64 v[126:127], v[130:131], -v[12:13]
	;; [unrolled: 1-line block ×6, first 2 shown]
	v_lshlrev_b32_e32 v38, 4, v0
	v_lshlrev_b32_e32 v12, 5, v9
	ds_write_b128 v38, v[100:103]
	ds_write_b128 v38, v[104:107] offset:96
	ds_write_b128 v38, v[122:125] offset:192
	;; [unrolled: 1-line block ×5, first 2 shown]
	s_waitcnt lgkmcnt(0)
	s_barrier
	ds_read_b128 v[132:135], v28
	ds_read_b128 v[96:99], v28 offset:15552
	ds_read_b128 v[100:103], v28 offset:31104
	;; [unrolled: 1-line block ×11, first 2 shown]
	global_load_dwordx4 v[84:87], v12, s[6:7] offset:496
	global_load_dwordx4 v[92:95], v12, s[6:7] offset:480
	s_waitcnt vmcnt(1) lgkmcnt(9)
	v_mul_f64 v[150:151], v[100:101], v[86:87]
	s_waitcnt vmcnt(0)
	v_mul_f64 v[12:13], v[98:99], v[94:95]
	v_fma_f64 v[144:145], v[96:97], v[92:93], -v[12:13]
	v_mul_f64 v[12:13], v[102:103], v[86:87]
	v_fma_f64 v[148:149], v[100:101], v[84:85], -v[12:13]
	v_mul_u32_u24_sdwa v12, v242, s8 dst_sel:DWORD dst_unused:UNUSED_PAD src0_sel:WORD_0 src1_sel:DWORD
	v_lshrrev_b32_e32 v14, 21, v12
	v_mul_lo_u16_e32 v12, 36, v14
	v_sub_u16_e32 v15, v242, v12
	v_lshlrev_b16_e32 v12, 5, v15
	v_mov_b32_e32 v13, v29
	v_mul_f64 v[146:147], v[96:97], v[94:95]
	v_lshl_add_u64 v[12:13], s[6:7], 0, v[12:13]
	v_fmac_f64_e32 v[146:147], v[98:99], v[92:93]
	v_fmac_f64_e32 v[150:151], v[102:103], v[84:85]
	global_load_dwordx4 v[96:99], v[12:13], off offset:496
	global_load_dwordx4 v[100:103], v[12:13], off offset:480
	s_waitcnt vmcnt(1) lgkmcnt(6)
	v_mul_f64 v[158:159], v[108:109], v[98:99]
	s_waitcnt vmcnt(0)
	v_mul_f64 v[12:13], v[106:107], v[102:103]
	v_fma_f64 v[152:153], v[104:105], v[100:101], -v[12:13]
	v_mul_f64 v[12:13], v[110:111], v[98:99]
	v_fma_f64 v[156:157], v[108:109], v[96:97], -v[12:13]
	v_mul_u32_u24_sdwa v12, v248, s8 dst_sel:DWORD dst_unused:UNUSED_PAD src0_sel:WORD_0 src1_sel:DWORD
	v_lshrrev_b32_e32 v18, 21, v12
	v_mul_lo_u16_e32 v12, 36, v18
	v_sub_u16_e32 v19, v248, v12
	v_lshlrev_b16_e32 v12, 5, v19
	v_mov_b32_e32 v13, v29
	v_mul_f64 v[154:155], v[104:105], v[102:103]
	v_lshl_add_u64 v[12:13], s[6:7], 0, v[12:13]
	v_fmac_f64_e32 v[154:155], v[106:107], v[100:101]
	v_fmac_f64_e32 v[158:159], v[110:111], v[96:97]
	global_load_dwordx4 v[104:107], v[12:13], off offset:496
	global_load_dwordx4 v[108:111], v[12:13], off offset:480
	s_waitcnt vmcnt(1) lgkmcnt(3)
	v_mul_f64 v[160:161], v[0:1], v[106:107]
	s_waitcnt vmcnt(0)
	v_mul_f64 v[12:13], v[6:7], v[110:111]
	v_fma_f64 v[12:13], v[4:5], v[108:109], -v[12:13]
	v_mul_f64 v[16:17], v[4:5], v[110:111]
	v_mul_f64 v[4:5], v[2:3], v[106:107]
	v_fma_f64 v[26:27], v[0:1], v[104:105], -v[4:5]
	v_mul_u32_u24_sdwa v0, v252, s8 dst_sel:DWORD dst_unused:UNUSED_PAD src0_sel:WORD_0 src1_sel:DWORD
	v_lshrrev_b32_e32 v20, 21, v0
	v_mul_lo_u16_e32 v0, 36, v20
	v_sub_u16_e32 v21, v252, v0
	v_lshlrev_b16_e32 v0, 5, v21
	v_mov_b32_e32 v1, v29
	v_lshl_add_u64 v[0:1], s[6:7], 0, v[0:1]
	global_load_dwordx4 v[112:115], v[0:1], off offset:496
	global_load_dwordx4 v[116:119], v[0:1], off offset:480
	v_fmac_f64_e32 v[160:161], v[2:3], v[104:105]
	v_add_f64 v[2:3], v[144:145], v[148:149]
	v_fmac_f64_e32 v[16:17], v[6:7], v[108:109]
	v_add_f64 v[6:7], v[146:147], v[150:151]
	s_waitcnt lgkmcnt(0)
	s_barrier
	s_movk_i32 s8, 0x6c
	s_waitcnt vmcnt(1)
	v_mul_f64 v[168:169], v[136:137], v[114:115]
	s_waitcnt vmcnt(0)
	v_mul_f64 v[0:1], v[142:143], v[118:119]
	v_fma_f64 v[162:163], v[140:141], v[116:117], -v[0:1]
	v_mul_f64 v[0:1], v[138:139], v[114:115]
	v_fma_f64 v[166:167], v[136:137], v[112:113], -v[0:1]
	v_add_f64 v[0:1], v[132:133], v[144:145]
	v_fmac_f64_e32 v[132:133], -0.5, v[2:3]
	v_add_f64 v[2:3], v[146:147], -v[150:151]
	v_mul_f64 v[164:165], v[140:141], v[118:119]
	v_fmac_f64_e32 v[168:169], v[138:139], v[112:113]
	v_fma_f64 v[4:5], s[2:3], v[2:3], v[132:133]
	v_fmac_f64_e32 v[132:133], s[4:5], v[2:3]
	v_add_f64 v[2:3], v[134:135], v[146:147]
	v_fmac_f64_e32 v[134:135], -0.5, v[6:7]
	v_add_f64 v[136:137], v[144:145], -v[148:149]
	v_add_f64 v[138:139], v[152:153], v[156:157]
	v_fmac_f64_e32 v[164:165], v[142:143], v[116:117]
	v_fma_f64 v[6:7], s[4:5], v[136:137], v[134:135]
	v_fmac_f64_e32 v[134:135], s[2:3], v[136:137]
	v_add_f64 v[136:137], v[128:129], v[152:153]
	v_fmac_f64_e32 v[128:129], -0.5, v[138:139]
	v_add_f64 v[138:139], v[154:155], -v[158:159]
	v_add_f64 v[142:143], v[154:155], v[158:159]
	v_fma_f64 v[140:141], s[2:3], v[138:139], v[128:129]
	v_fmac_f64_e32 v[128:129], s[4:5], v[138:139]
	v_add_f64 v[138:139], v[130:131], v[154:155]
	v_fmac_f64_e32 v[130:131], -0.5, v[142:143]
	v_add_f64 v[144:145], v[152:153], -v[156:157]
	v_add_f64 v[146:147], v[12:13], v[26:27]
	;; [unrolled: 6-line block ×3, first 2 shown]
	v_fma_f64 v[148:149], s[2:3], v[146:147], v[124:125]
	v_fmac_f64_e32 v[124:125], s[4:5], v[146:147]
	v_add_f64 v[146:147], v[126:127], v[16:17]
	v_add_f64 v[16:17], v[16:17], v[160:161]
	;; [unrolled: 1-line block ×3, first 2 shown]
	v_fmac_f64_e32 v[126:127], -0.5, v[16:17]
	v_add_f64 v[12:13], v[12:13], -v[26:27]
	v_fma_f64 v[150:151], s[4:5], v[12:13], v[126:127]
	v_fmac_f64_e32 v[126:127], s[2:3], v[12:13]
	v_add_f64 v[12:13], v[120:121], v[162:163]
	ds_write_b128 v8, v[0:3]
	ds_write_b128 v8, v[4:7] offset:576
	ds_write_b128 v8, v[132:135] offset:1152
	v_mov_b32_e32 v8, 19
	v_add_f64 v[152:153], v[12:13], v[166:167]
	v_add_f64 v[12:13], v[162:163], v[166:167]
	v_mad_legacy_u16 v0, v14, s8, v15
	v_mul_lo_u16_sdwa v8, v32, v8 dst_sel:DWORD dst_unused:UNUSED_PAD src0_sel:BYTE_0 src1_sel:DWORD
	v_add_f64 v[136:137], v[136:137], v[156:157]
	v_add_f64 v[138:139], v[138:139], v[158:159]
	v_fmac_f64_e32 v[120:121], -0.5, v[12:13]
	v_add_f64 v[12:13], v[164:165], -v[168:169]
	v_lshlrev_b32_e32 v0, 4, v0
	v_lshrrev_b16_e32 v8, 11, v8
	v_fma_f64 v[156:157], s[2:3], v[12:13], v[120:121]
	v_fmac_f64_e32 v[120:121], s[4:5], v[12:13]
	v_add_f64 v[12:13], v[122:123], v[164:165]
	ds_write_b128 v0, v[136:139]
	ds_write_b128 v0, v[140:143] offset:576
	ds_write_b128 v0, v[128:131] offset:1152
	v_accvgpr_write_b32 a45, v0
	v_mad_legacy_u16 v0, v18, s8, v19
	v_mul_lo_u16_e32 v9, 0x6c, v8
	v_add_f64 v[144:145], v[144:145], v[26:27]
	v_add_f64 v[146:147], v[146:147], v[160:161]
	;; [unrolled: 1-line block ×4, first 2 shown]
	v_lshlrev_b32_e32 v0, 4, v0
	v_sub_u16_e32 v9, v32, v9
	v_fmac_f64_e32 v[122:123], -0.5, v[12:13]
	v_add_f64 v[12:13], v[162:163], -v[166:167]
	ds_write_b128 v0, v[144:147]
	ds_write_b128 v0, v[148:151] offset:576
	ds_write_b128 v0, v[124:127] offset:1152
	v_accvgpr_write_b32 a47, v0
	v_mad_legacy_u16 v0, v20, s8, v21
	v_and_b32_e32 v9, 0xff, v9
	v_fma_f64 v[158:159], s[4:5], v[12:13], v[122:123]
	v_fmac_f64_e32 v[122:123], s[2:3], v[12:13]
	v_lshlrev_b32_e32 v0, 4, v0
	v_lshlrev_b32_e32 v12, 5, v9
	ds_write_b128 v0, v[152:155]
	ds_write_b128 v0, v[156:159] offset:576
	ds_write_b128 v0, v[120:123] offset:1152
	v_accvgpr_write_b32 a46, v0
	s_waitcnt lgkmcnt(0)
	s_barrier
	ds_read_b128 v[164:167], v28
	ds_read_b128 v[128:131], v28 offset:15552
	ds_read_b128 v[132:135], v28 offset:31104
	;; [unrolled: 1-line block ×11, first 2 shown]
	global_load_dwordx4 v[120:123], v12, s[6:7] offset:1648
	global_load_dwordx4 v[124:127], v12, s[6:7] offset:1632
	v_lshrrev_b16_e32 v18, 2, v248
	v_mul_u32_u24_e32 v18, 0x4bdb, v18
	v_lshrrev_b32_e32 v18, 19, v18
	v_mul_lo_u16_e32 v19, 0x6c, v18
	v_sub_u16_e32 v19, v248, v19
	v_mul_u32_u24_e32 v8, 0x144, v8
	s_movk_i32 s8, 0x144
	v_add_lshl_u32 v8, v8, v9, 4
	v_accvgpr_write_b32 a50, v8
	s_waitcnt vmcnt(1) lgkmcnt(9)
	v_mul_f64 v[182:183], v[132:133], v[122:123]
	s_waitcnt vmcnt(0)
	v_mul_f64 v[12:13], v[130:131], v[126:127]
	v_fma_f64 v[176:177], v[128:129], v[124:125], -v[12:13]
	v_mul_f64 v[12:13], v[134:135], v[122:123]
	v_fma_f64 v[180:181], v[132:133], v[120:121], -v[12:13]
	v_lshrrev_b16_e32 v12, 2, v242
	v_mul_u32_u24_e32 v12, 0x4bdb, v12
	v_lshrrev_b32_e32 v14, 19, v12
	v_mul_lo_u16_e32 v12, 0x6c, v14
	v_sub_u16_e32 v15, v242, v12
	v_lshlrev_b16_e32 v12, 5, v15
	v_mov_b32_e32 v13, v29
	v_mul_f64 v[178:179], v[128:129], v[126:127]
	v_lshl_add_u64 v[12:13], s[6:7], 0, v[12:13]
	v_fmac_f64_e32 v[178:179], v[130:131], v[124:125]
	v_fmac_f64_e32 v[182:183], v[134:135], v[120:121]
	global_load_dwordx4 v[128:131], v[12:13], off offset:1648
	global_load_dwordx4 v[132:135], v[12:13], off offset:1632
	s_waitcnt vmcnt(1) lgkmcnt(6)
	v_mul_f64 v[26:27], v[142:143], v[130:131]
	s_waitcnt vmcnt(0)
	v_mul_f64 v[12:13], v[138:139], v[134:135]
	v_fma_f64 v[12:13], v[136:137], v[132:133], -v[12:13]
	v_mul_f64 v[16:17], v[136:137], v[134:135]
	v_lshlrev_b16_e32 v136, 5, v19
	v_mov_b32_e32 v137, v29
	v_fma_f64 v[26:27], v[140:141], v[128:129], -v[26:27]
	v_mul_f64 v[184:185], v[140:141], v[130:131]
	v_lshl_add_u64 v[140:141], s[6:7], 0, v[136:137]
	v_fmac_f64_e32 v[16:17], v[138:139], v[132:133]
	v_fmac_f64_e32 v[184:185], v[142:143], v[128:129]
	global_load_dwordx4 v[136:139], v[140:141], off offset:1648
	s_nop 0
	global_load_dwordx4 v[140:143], v[140:141], off offset:1632
	s_waitcnt vmcnt(1) lgkmcnt(3)
	v_mul_f64 v[192:193], v[0:1], v[138:139]
	s_waitcnt vmcnt(0)
	v_mul_f64 v[144:145], v[6:7], v[142:143]
	v_fma_f64 v[186:187], v[4:5], v[140:141], -v[144:145]
	v_mul_f64 v[188:189], v[4:5], v[142:143]
	v_mul_f64 v[4:5], v[2:3], v[138:139]
	v_fma_f64 v[190:191], v[0:1], v[136:137], -v[4:5]
	v_lshrrev_b16_e32 v0, 2, v252
	v_mul_u32_u24_e32 v0, 0x4bdb, v0
	v_lshrrev_b32_e32 v20, 19, v0
	v_mul_lo_u16_e32 v0, 0x6c, v20
	v_sub_u16_e32 v21, v252, v0
	v_lshlrev_b16_e32 v0, 5, v21
	v_mov_b32_e32 v1, v29
	v_lshl_add_u64 v[0:1], s[6:7], 0, v[0:1]
	global_load_dwordx4 v[144:147], v[0:1], off offset:1648
	global_load_dwordx4 v[148:151], v[0:1], off offset:1632
	v_fmac_f64_e32 v[192:193], v[2:3], v[136:137]
	v_add_f64 v[2:3], v[176:177], v[180:181]
	v_fmac_f64_e32 v[188:189], v[6:7], v[140:141]
	v_add_f64 v[6:7], v[178:179], v[182:183]
	s_waitcnt lgkmcnt(0)
	s_barrier
	s_waitcnt vmcnt(1)
	v_mul_f64 v[200:201], v[168:169], v[146:147]
	s_waitcnt vmcnt(0)
	v_mul_f64 v[0:1], v[174:175], v[150:151]
	v_fma_f64 v[194:195], v[172:173], v[148:149], -v[0:1]
	v_mul_f64 v[0:1], v[170:171], v[146:147]
	v_fma_f64 v[198:199], v[168:169], v[144:145], -v[0:1]
	v_add_f64 v[0:1], v[164:165], v[176:177]
	v_fmac_f64_e32 v[164:165], -0.5, v[2:3]
	v_add_f64 v[2:3], v[178:179], -v[182:183]
	v_fmac_f64_e32 v[200:201], v[170:171], v[144:145]
	v_fma_f64 v[4:5], s[2:3], v[2:3], v[164:165]
	v_fmac_f64_e32 v[164:165], s[4:5], v[2:3]
	v_add_f64 v[2:3], v[166:167], v[178:179]
	v_fmac_f64_e32 v[166:167], -0.5, v[6:7]
	v_add_f64 v[168:169], v[176:177], -v[180:181]
	v_add_f64 v[170:171], v[12:13], v[26:27]
	v_fma_f64 v[6:7], s[4:5], v[168:169], v[166:167]
	v_fmac_f64_e32 v[166:167], s[2:3], v[168:169]
	v_add_f64 v[168:169], v[160:161], v[12:13]
	v_fmac_f64_e32 v[160:161], -0.5, v[170:171]
	v_add_f64 v[170:171], v[16:17], -v[184:185]
	v_mul_f64 v[196:197], v[172:173], v[150:151]
	v_fma_f64 v[172:173], s[2:3], v[170:171], v[160:161]
	v_fmac_f64_e32 v[160:161], s[4:5], v[170:171]
	v_add_f64 v[170:171], v[162:163], v[16:17]
	v_add_f64 v[16:17], v[16:17], v[184:185]
	v_fmac_f64_e32 v[162:163], -0.5, v[16:17]
	v_add_f64 v[12:13], v[12:13], -v[26:27]
	v_fmac_f64_e32 v[196:197], v[174:175], v[148:149]
	v_fma_f64 v[174:175], s[4:5], v[12:13], v[162:163]
	v_fmac_f64_e32 v[162:163], s[2:3], v[12:13]
	v_add_f64 v[12:13], v[156:157], v[186:187]
	v_add_f64 v[176:177], v[12:13], v[190:191]
	;; [unrolled: 1-line block ×3, first 2 shown]
	v_fmac_f64_e32 v[156:157], -0.5, v[12:13]
	v_add_f64 v[12:13], v[188:189], -v[192:193]
	v_add_f64 v[0:1], v[0:1], v[180:181]
	v_add_f64 v[2:3], v[2:3], v[182:183]
	v_fma_f64 v[180:181], s[2:3], v[12:13], v[156:157]
	v_fmac_f64_e32 v[156:157], s[4:5], v[12:13]
	v_add_f64 v[12:13], v[158:159], v[188:189]
	v_add_f64 v[178:179], v[12:13], v[192:193]
	;; [unrolled: 1-line block ×3, first 2 shown]
	ds_write_b128 v8, v[0:3]
	ds_write_b128 v8, v[4:7] offset:1728
	ds_write_b128 v8, v[164:167] offset:3456
	v_mad_legacy_u16 v0, v14, s8, v15
	v_add_f64 v[168:169], v[168:169], v[26:27]
	v_add_f64 v[170:171], v[170:171], v[184:185]
	v_fmac_f64_e32 v[158:159], -0.5, v[12:13]
	v_add_f64 v[12:13], v[186:187], -v[190:191]
	v_lshlrev_b32_e32 v0, 4, v0
	v_fma_f64 v[182:183], s[4:5], v[12:13], v[158:159]
	v_fmac_f64_e32 v[158:159], s[2:3], v[12:13]
	v_add_f64 v[12:13], v[152:153], v[194:195]
	ds_write_b128 v0, v[168:171]
	ds_write_b128 v0, v[172:175] offset:1728
	ds_write_b128 v0, v[160:163] offset:3456
	v_accvgpr_write_b32 a48, v0
	v_mad_legacy_u16 v0, v18, s8, v19
	v_add_f64 v[184:185], v[12:13], v[198:199]
	v_add_f64 v[12:13], v[194:195], v[198:199]
	v_lshlrev_b32_e32 v0, 4, v0
	v_fmac_f64_e32 v[152:153], -0.5, v[12:13]
	v_add_f64 v[12:13], v[196:197], -v[200:201]
	ds_write_b128 v0, v[176:179]
	ds_write_b128 v0, v[180:183] offset:1728
	ds_write_b128 v0, v[156:159] offset:3456
	v_accvgpr_write_b32 a49, v0
	v_mad_legacy_u16 v0, v20, s8, v21
	v_fma_f64 v[188:189], s[2:3], v[12:13], v[152:153]
	v_fmac_f64_e32 v[152:153], s[4:5], v[12:13]
	v_add_f64 v[12:13], v[154:155], v[196:197]
	v_lshlrev_b32_e32 v39, 4, v0
	v_lshlrev_b32_e32 v0, 5, v32
	v_mov_b32_e32 v1, v29
	v_add_f64 v[186:187], v[12:13], v[200:201]
	v_add_f64 v[12:13], v[196:197], v[200:201]
	v_lshl_add_u64 v[244:245], s[6:7], 0, v[0:1]
	v_fmac_f64_e32 v[154:155], -0.5, v[12:13]
	v_add_f64 v[12:13], v[194:195], -v[198:199]
	v_add_co_u32_e32 v6, vcc, s11, v244
	v_fma_f64 v[190:191], s[4:5], v[12:13], v[154:155]
	v_fmac_f64_e32 v[154:155], s[2:3], v[12:13]
	s_mov_b64 s[8:9], 0x13e0
	v_addc_co_u32_e32 v7, vcc, 0, v245, vcc
	ds_write_b128 v39, v[184:187]
	ds_write_b128 v39, v[188:191] offset:1728
	ds_write_b128 v39, v[152:155] offset:3456
	s_waitcnt lgkmcnt(0)
	s_barrier
	ds_read_b128 v[196:199], v28
	ds_read_b128 v[2:5], v28 offset:15552
	ds_read_b128 v[160:163], v28 offset:31104
	;; [unrolled: 1-line block ×11, first 2 shown]
	v_lshl_add_u64 v[0:1], v[244:245], 0, s[8:9]
	global_load_dwordx4 v[152:155], v[6:7], off offset:992
	global_load_dwordx4 v[156:159], v[0:1], off offset:16
	v_cmp_gt_u16_e32 vcc, s13, v32
	s_movk_i32 s13, 0x6523
	s_waitcnt vmcnt(1) lgkmcnt(10)
	v_mul_f64 v[0:1], v[4:5], v[154:155]
	v_fma_f64 v[0:1], v[2:3], v[152:153], -v[0:1]
	v_mul_f64 v[2:3], v[2:3], v[154:155]
	v_fmac_f64_e32 v[2:3], v[4:5], v[152:153]
	s_waitcnt vmcnt(0) lgkmcnt(9)
	v_mul_f64 v[4:5], v[162:163], v[158:159]
	v_fma_f64 v[6:7], v[160:161], v[156:157], -v[4:5]
	v_lshl_add_u64 v[4:5], v[32:33], 0, s[14:15]
	v_cndmask_b32_e32 v225, v5, v243, vcc
	v_cndmask_b32_e32 v224, v4, v242, vcc
	v_lshlrev_b64 v[4:5], 5, v[224:225]
	v_lshl_add_u64 v[4:5], s[6:7], 0, v[4:5]
	v_lshl_add_u64 v[12:13], v[4:5], 0, s[8:9]
	v_add_co_u32_e32 v4, vcc, s11, v4
	v_mul_f64 v[208:209], v[160:161], v[158:159]
	s_nop 0
	v_addc_co_u32_e32 v5, vcc, 0, v5, vcc
	v_fmac_f64_e32 v[208:209], v[162:163], v[156:157]
	global_load_dwordx4 v[160:163], v[4:5], off offset:992
	global_load_dwordx4 v[164:167], v[12:13], off offset:16
	s_waitcnt vmcnt(1) lgkmcnt(7)
	v_mul_f64 v[4:5], v[170:171], v[162:163]
	v_fma_f64 v[16:17], v[168:169], v[160:161], -v[4:5]
	s_waitcnt vmcnt(0) lgkmcnt(6)
	v_mul_f64 v[4:5], v[174:175], v[166:167]
	v_fma_f64 v[210:211], v[172:173], v[164:165], -v[4:5]
	v_mul_u32_u24_sdwa v4, v248, s13 dst_sel:DWORD dst_unused:UNUSED_PAD src0_sel:WORD_0 src1_sel:DWORD
	v_lshrrev_b32_e32 v13, 23, v4
	v_mul_lo_u16_e32 v4, 0x144, v13
	v_sub_u16_e32 v15, v248, v4
	v_lshlrev_b16_e32 v4, 5, v15
	v_mov_b32_e32 v5, v29
	v_lshl_add_u64 v[4:5], s[6:7], 0, v[4:5]
	v_mul_f64 v[212:213], v[172:173], v[166:167]
	v_lshl_add_u64 v[172:173], v[4:5], 0, s[8:9]
	v_add_co_u32_e32 v4, vcc, s11, v4
	v_mul_f64 v[26:27], v[168:169], v[162:163]
	s_nop 0
	v_addc_co_u32_e32 v5, vcc, 0, v5, vcc
	v_fmac_f64_e32 v[26:27], v[170:171], v[160:161]
	v_fmac_f64_e32 v[212:213], v[174:175], v[164:165]
	global_load_dwordx4 v[168:171], v[4:5], off offset:992
	s_nop 0
	global_load_dwordx4 v[172:175], v[172:173], off offset:16
	s_waitcnt vmcnt(1) lgkmcnt(4)
	v_mul_f64 v[4:5], v[182:183], v[170:171]
	v_fma_f64 v[226:227], v[180:181], v[168:169], -v[4:5]
	s_waitcnt vmcnt(0) lgkmcnt(3)
	v_mul_f64 v[4:5], v[178:179], v[174:175]
	v_fma_f64 v[230:231], v[176:177], v[172:173], -v[4:5]
	v_mul_u32_u24_sdwa v4, v252, s13 dst_sel:DWORD dst_unused:UNUSED_PAD src0_sel:WORD_0 src1_sel:DWORD
	v_lshrrev_b32_e32 v4, 23, v4
	v_mul_lo_u16_e32 v4, 0x144, v4
	v_sub_u16_e32 v225, v252, v4
	v_lshlrev_b16_e32 v4, 5, v225
	v_mov_b32_e32 v5, v29
	v_lshl_add_u64 v[4:5], s[6:7], 0, v[4:5]
	v_mul_f64 v[232:233], v[176:177], v[174:175]
	v_lshl_add_u64 v[176:177], v[4:5], 0, s[8:9]
	v_add_co_u32_e32 v4, vcc, s11, v4
	v_mul_f64 v[228:229], v[180:181], v[170:171]
	s_nop 0
	v_addc_co_u32_e32 v5, vcc, 0, v5, vcc
	v_fmac_f64_e32 v[228:229], v[182:183], v[168:169]
	v_fmac_f64_e32 v[232:233], v[178:179], v[172:173]
	global_load_dwordx4 v[180:183], v[4:5], off offset:992
	s_nop 0
	global_load_dwordx4 v[176:179], v[176:177], off offset:16
	s_waitcnt lgkmcnt(0)
	s_barrier
	v_cmp_lt_u16_e32 vcc, s12, v32
	s_movk_i32 s8, 0x3cc
	s_waitcnt vmcnt(1)
	v_mul_f64 v[4:5], v[206:207], v[182:183]
	v_fma_f64 v[234:235], v[204:205], v[180:181], -v[4:5]
	s_waitcnt vmcnt(0)
	v_mul_f64 v[4:5], v[202:203], v[178:179]
	v_fma_f64 v[238:239], v[200:201], v[176:177], -v[4:5]
	v_add_f64 v[4:5], v[196:197], v[0:1]
	v_add_f64 v[220:221], v[4:5], v[6:7]
	;; [unrolled: 1-line block ×3, first 2 shown]
	v_mul_f64 v[246:247], v[200:201], v[178:179]
	v_fmac_f64_e32 v[196:197], -0.5, v[4:5]
	v_add_f64 v[200:201], v[2:3], -v[208:209]
	v_fma_f64 v[4:5], s[2:3], v[200:201], v[196:197]
	v_fmac_f64_e32 v[196:197], s[4:5], v[200:201]
	v_add_f64 v[200:201], v[198:199], v[2:3]
	v_add_f64 v[2:3], v[2:3], v[208:209]
	v_fmac_f64_e32 v[198:199], -0.5, v[2:3]
	v_add_f64 v[0:1], v[0:1], -v[6:7]
	v_add_f64 v[2:3], v[16:17], v[210:211]
	v_fma_f64 v[6:7], s[4:5], v[0:1], v[198:199]
	v_fmac_f64_e32 v[198:199], s[2:3], v[0:1]
	v_add_f64 v[0:1], v[192:193], v[16:17]
	v_fmac_f64_e32 v[192:193], -0.5, v[2:3]
	v_add_f64 v[2:3], v[26:27], -v[212:213]
	v_fma_f64 v[216:217], s[2:3], v[2:3], v[192:193]
	v_fmac_f64_e32 v[192:193], s[4:5], v[2:3]
	v_add_f64 v[2:3], v[194:195], v[26:27]
	v_add_f64 v[26:27], v[26:27], v[212:213]
	v_fmac_f64_e32 v[194:195], -0.5, v[26:27]
	v_add_f64 v[16:17], v[16:17], -v[210:211]
	v_fma_f64 v[218:219], s[4:5], v[16:17], v[194:195]
	v_fmac_f64_e32 v[194:195], s[2:3], v[16:17]
	v_add_f64 v[16:17], v[188:189], v[226:227]
	v_add_f64 v[2:3], v[2:3], v[212:213]
	;; [unrolled: 1-line block ×4, first 2 shown]
	v_fmac_f64_e32 v[188:189], -0.5, v[16:17]
	v_add_f64 v[16:17], v[228:229], -v[232:233]
	v_add_f64 v[222:223], v[200:201], v[208:209]
	v_fma_f64 v[208:209], s[2:3], v[16:17], v[188:189]
	v_fmac_f64_e32 v[188:189], s[4:5], v[16:17]
	v_add_f64 v[16:17], v[190:191], v[228:229]
	v_add_f64 v[214:215], v[16:17], v[232:233]
	;; [unrolled: 1-line block ×3, first 2 shown]
	v_fmac_f64_e32 v[190:191], -0.5, v[16:17]
	v_add_f64 v[16:17], v[226:227], -v[230:231]
	v_mul_f64 v[236:237], v[204:205], v[182:183]
	v_add_f64 v[0:1], v[0:1], v[210:211]
	v_fma_f64 v[210:211], s[4:5], v[16:17], v[190:191]
	v_fmac_f64_e32 v[190:191], s[2:3], v[16:17]
	v_add_f64 v[16:17], v[184:185], v[234:235]
	v_fmac_f64_e32 v[236:237], v[206:207], v[180:181]
	v_fmac_f64_e32 v[246:247], v[202:203], v[176:177]
	v_add_f64 v[204:205], v[16:17], v[238:239]
	v_add_f64 v[16:17], v[234:235], v[238:239]
	v_fmac_f64_e32 v[184:185], -0.5, v[16:17]
	v_add_f64 v[16:17], v[236:237], -v[246:247]
	v_fma_f64 v[200:201], s[2:3], v[16:17], v[184:185]
	v_fmac_f64_e32 v[184:185], s[4:5], v[16:17]
	v_add_f64 v[16:17], v[186:187], v[236:237]
	ds_write_b128 v28, v[220:223]
	ds_write_b128 v28, v[4:7] offset:5184
	ds_write_b128 v28, v[196:199] offset:10368
	v_mov_b32_e32 v4, 0x3cc
	v_add_f64 v[206:207], v[16:17], v[246:247]
	v_add_f64 v[16:17], v[236:237], v[246:247]
	v_cndmask_b32_e32 v4, 0, v4, vcc
	v_fmac_f64_e32 v[186:187], -0.5, v[16:17]
	v_add_f64 v[16:17], v[234:235], -v[238:239]
	v_add_lshl_u32 v33, v224, v4, 4
	v_fma_f64 v[202:203], s[4:5], v[16:17], v[186:187]
	v_fmac_f64_e32 v[186:187], s[2:3], v[16:17]
	ds_write_b128 v33, v[0:3]
	ds_write_b128 v33, v[216:219] offset:5184
	ds_write_b128 v33, v[192:195] offset:10368
	v_mad_legacy_u16 v0, v13, s8, v15
	v_add_co_u32_e32 v16, vcc, s10, v244
	v_lshlrev_b32_e32 v26, 4, v0
	v_lshlrev_b32_e32 v27, 4, v225
	s_mov_b64 s[8:9], 0x3c60
	v_addc_co_u32_e32 v17, vcc, 0, v245, vcc
	ds_write_b128 v26, v[212:215]
	ds_write_b128 v26, v[208:211] offset:5184
	ds_write_b128 v26, v[188:191] offset:10368
	;; [unrolled: 1-line block ×5, first 2 shown]
	s_waitcnt lgkmcnt(0)
	s_barrier
	ds_read_b128 v[228:231], v28
	ds_read_b128 v[192:195], v28 offset:15552
	ds_read_b128 v[196:199], v28 offset:31104
	;; [unrolled: 1-line block ×11, first 2 shown]
	v_lshl_add_u64 v[12:13], v[244:245], 0, s[8:9]
	global_load_dwordx4 v[184:187], v[16:17], off offset:3168
	global_load_dwordx4 v[188:191], v[12:13], off offset:16
	s_waitcnt vmcnt(1) lgkmcnt(10)
	v_mul_f64 v[12:13], v[194:195], v[186:187]
	v_fma_f64 v[12:13], v[192:193], v[184:185], -v[12:13]
	v_mul_f64 v[16:17], v[192:193], v[186:187]
	s_waitcnt vmcnt(0) lgkmcnt(9)
	v_mul_f64 v[192:193], v[198:199], v[190:191]
	v_fma_f64 v[244:245], v[196:197], v[188:189], -v[192:193]
	v_lshlrev_b32_e32 v192, 5, v242
	v_mov_b32_e32 v193, v29
	v_lshl_add_u64 v[192:193], s[6:7], 0, v[192:193]
	v_fmac_f64_e32 v[16:17], v[194:195], v[184:185]
	v_lshl_add_u64 v[194:195], v[192:193], 0, s[8:9]
	v_add_co_u32_e32 v192, vcc, s10, v192
	v_mul_f64 v[246:247], v[196:197], v[190:191]
	s_nop 0
	v_addc_co_u32_e32 v193, vcc, 0, v193, vcc
	v_fmac_f64_e32 v[246:247], v[198:199], v[188:189]
	global_load_dwordx4 v[196:199], v[192:193], off offset:3168
	s_nop 0
	global_load_dwordx4 v[192:195], v[194:195], off offset:16
	v_add_f64 v[20:21], v[16:17], -v[246:247]
	s_waitcnt vmcnt(1) lgkmcnt(7)
	v_mul_f64 v[208:209], v[206:207], v[198:199]
	v_fma_f64 v[242:243], v[204:205], v[196:197], -v[208:209]
	v_mul_f64 v[250:251], v[204:205], v[198:199]
	s_waitcnt vmcnt(0) lgkmcnt(6)
	v_mul_f64 v[204:205], v[202:203], v[194:195]
	v_fma_f64 v[14:15], v[200:201], v[192:193], -v[204:205]
	v_mul_f64 v[240:241], v[200:201], v[194:195]
	v_lshlrev_b32_e32 v200, 5, v248
	v_mov_b32_e32 v201, v29
	v_lshl_add_u64 v[200:201], s[6:7], 0, v[200:201]
	v_fmac_f64_e32 v[240:241], v[202:203], v[192:193]
	v_lshl_add_u64 v[202:203], v[200:201], 0, s[8:9]
	v_add_co_u32_e32 v200, vcc, s10, v200
	v_fmac_f64_e32 v[250:251], v[206:207], v[196:197]
	s_nop 0
	v_addc_co_u32_e32 v201, vcc, 0, v201, vcc
	global_load_dwordx4 v[204:207], v[200:201], off offset:3168
	s_nop 0
	global_load_dwordx4 v[200:203], v[202:203], off offset:16
	s_waitcnt vmcnt(1) lgkmcnt(4)
	v_mul_f64 v[208:209], v[6:7], v[206:207]
	v_fma_f64 v[8:9], v[4:5], v[204:205], -v[208:209]
	v_mul_f64 v[30:31], v[4:5], v[206:207]
	s_waitcnt vmcnt(0) lgkmcnt(3)
	v_mul_f64 v[4:5], v[2:3], v[202:203]
	v_fmac_f64_e32 v[30:31], v[6:7], v[204:205]
	v_fma_f64 v[4:5], v[0:1], v[200:201], -v[4:5]
	v_mul_f64 v[6:7], v[0:1], v[202:203]
	v_lshlrev_b32_e32 v0, 5, v252
	v_mov_b32_e32 v1, v29
	v_lshl_add_u64 v[0:1], s[6:7], 0, v[0:1]
	v_fmac_f64_e32 v[6:7], v[2:3], v[200:201]
	v_lshl_add_u64 v[2:3], v[0:1], 0, s[8:9]
	v_add_co_u32_e32 v0, vcc, s10, v0
	s_mov_b64 s[6:7], 0xb640
	s_nop 0
	v_addc_co_u32_e32 v1, vcc, 0, v1, vcc
	global_load_dwordx4 v[212:215], v[0:1], off offset:3168
	global_load_dwordx4 v[208:211], v[2:3], off offset:16
	s_waitcnt vmcnt(1) lgkmcnt(1)
	v_mul_f64 v[0:1], v[238:239], v[214:215]
	s_waitcnt vmcnt(0) lgkmcnt(0)
	v_mul_f64 v[18:19], v[234:235], v[210:211]
	v_fma_f64 v[0:1], v[236:237], v[212:213], -v[0:1]
	v_mul_f64 v[2:3], v[236:237], v[214:215]
	v_fma_f64 v[236:237], v[232:233], v[208:209], -v[18:19]
	v_add_f64 v[18:19], v[228:229], v[12:13]
	v_add_f64 v[252:253], v[18:19], v[244:245]
	;; [unrolled: 1-line block ×3, first 2 shown]
	v_fmac_f64_e32 v[228:229], -0.5, v[18:19]
	v_fma_f64 v[18:19], s[2:3], v[20:21], v[228:229]
	v_fmac_f64_e32 v[228:229], s[4:5], v[20:21]
	v_add_f64 v[20:21], v[230:231], v[16:17]
	v_add_f64 v[16:17], v[16:17], v[246:247]
	v_fmac_f64_e32 v[230:231], -0.5, v[16:17]
	v_add_f64 v[12:13], v[12:13], -v[244:245]
	v_add_f64 v[254:255], v[20:21], v[246:247]
	v_fma_f64 v[20:21], s[4:5], v[12:13], v[230:231]
	v_fmac_f64_e32 v[230:231], s[2:3], v[12:13]
	v_add_f64 v[12:13], v[224:225], v[242:243]
	v_add_f64 v[22:23], v[12:13], v[14:15]
	v_add_f64 v[12:13], v[242:243], v[14:15]
	v_fmac_f64_e32 v[224:225], -0.5, v[12:13]
	v_add_f64 v[12:13], v[250:251], -v[240:241]
	v_fma_f64 v[248:249], s[2:3], v[12:13], v[224:225]
	v_fmac_f64_e32 v[224:225], s[4:5], v[12:13]
	v_add_f64 v[12:13], v[226:227], v[250:251]
	v_add_f64 v[24:25], v[12:13], v[240:241]
	v_add_f64 v[12:13], v[250:251], v[240:241]
	v_fmac_f64_e32 v[226:227], -0.5, v[12:13]
	v_add_f64 v[12:13], v[242:243], -v[14:15]
	;; [unrolled: 7-line block ×3, first 2 shown]
	v_fma_f64 v[240:241], s[2:3], v[12:13], v[220:221]
	v_fmac_f64_e32 v[220:221], s[4:5], v[12:13]
	v_add_f64 v[12:13], v[222:223], v[30:31]
	v_fmac_f64_e32 v[2:3], v[238:239], v[212:213]
	v_mul_f64 v[238:239], v[232:233], v[210:211]
	v_add_f64 v[246:247], v[12:13], v[6:7]
	v_add_f64 v[6:7], v[30:31], v[6:7]
	v_fmac_f64_e32 v[238:239], v[234:235], v[208:209]
	v_fmac_f64_e32 v[222:223], -0.5, v[6:7]
	v_add_f64 v[4:5], v[8:9], -v[4:5]
	v_add_f64 v[6:7], v[0:1], v[236:237]
	v_fma_f64 v[242:243], s[4:5], v[4:5], v[222:223]
	v_fmac_f64_e32 v[222:223], s[2:3], v[4:5]
	v_add_f64 v[4:5], v[216:217], v[0:1]
	v_fmac_f64_e32 v[216:217], -0.5, v[6:7]
	v_add_f64 v[6:7], v[2:3], -v[238:239]
	v_fma_f64 v[232:233], s[2:3], v[6:7], v[216:217]
	v_fmac_f64_e32 v[216:217], s[4:5], v[6:7]
	v_add_f64 v[6:7], v[218:219], v[2:3]
	v_add_f64 v[2:3], v[2:3], v[238:239]
	;; [unrolled: 1-line block ×3, first 2 shown]
	v_fmac_f64_e32 v[218:219], -0.5, v[2:3]
	v_add_f64 v[0:1], v[0:1], -v[236:237]
	v_add_f64 v[6:7], v[6:7], v[238:239]
	v_fma_f64 v[234:235], s[4:5], v[0:1], v[218:219]
	v_fmac_f64_e32 v[218:219], s[2:3], v[0:1]
	ds_write_b128 v28, v[252:255]
	ds_write_b128 v28, v[18:21] offset:15552
	ds_write_b128 v28, v[228:231] offset:31104
	;; [unrolled: 1-line block ×11, first 2 shown]
	v_lshl_add_u64 v[4:5], v[10:11], 0, s[6:7]
	s_mov_b32 s6, 0xb000
	v_add_co_u32_e32 v6, vcc, s6, v10
	s_waitcnt lgkmcnt(0)
	s_nop 0
	v_addc_co_u32_e32 v7, vcc, 0, v11, vcc
	s_barrier
	global_load_dwordx4 v[216:219], v[6:7], off offset:1600
	ds_read_b128 v[0:3], v28
	s_mov_b32 s6, 0xd000
	s_waitcnt vmcnt(0) lgkmcnt(0)
	v_mul_f64 v[6:7], v[2:3], v[218:219]
	v_fma_f64 v[220:221], v[0:1], v[216:217], -v[6:7]
	v_add_co_u32_e32 v6, vcc, s6, v10
	v_mul_f64 v[222:223], v[0:1], v[218:219]
	s_nop 0
	v_addc_co_u32_e32 v7, vcc, 0, v11, vcc
	v_fmac_f64_e32 v[222:223], v[2:3], v[216:217]
	global_load_dwordx4 v[216:219], v[6:7], off offset:1184
	ds_read_b128 v[0:3], v28 offset:7776
	s_mov_b32 s6, 0xf000
	ds_write_b128 v28, v[220:223]
	s_waitcnt vmcnt(0) lgkmcnt(1)
	v_mul_f64 v[6:7], v[2:3], v[218:219]
	v_fma_f64 v[220:221], v[0:1], v[216:217], -v[6:7]
	v_add_co_u32_e32 v6, vcc, s6, v10
	v_mul_f64 v[222:223], v[0:1], v[218:219]
	s_nop 0
	v_addc_co_u32_e32 v7, vcc, 0, v11, vcc
	v_fmac_f64_e32 v[222:223], v[2:3], v[216:217]
	global_load_dwordx4 v[216:219], v[6:7], off offset:768
	ds_read_b128 v[0:3], v28 offset:15552
	s_mov_b32 s6, 0x11000
	ds_write_b128 v28, v[220:223] offset:7776
	s_waitcnt vmcnt(0) lgkmcnt(1)
	v_mul_f64 v[6:7], v[2:3], v[218:219]
	v_fma_f64 v[220:221], v[0:1], v[216:217], -v[6:7]
	v_add_co_u32_e32 v6, vcc, s6, v10
	v_mul_f64 v[222:223], v[0:1], v[218:219]
	s_nop 0
	v_addc_co_u32_e32 v7, vcc, 0, v11, vcc
	v_fmac_f64_e32 v[222:223], v[2:3], v[216:217]
	global_load_dwordx4 v[216:219], v[6:7], off offset:352
	ds_read_b128 v[0:3], v28 offset:23328
	s_mov_b32 s6, 0x12000
	ds_write_b128 v28, v[220:223] offset:15552
	;; [unrolled: 12-line block ×3, first 2 shown]
	s_waitcnt vmcnt(0) lgkmcnt(1)
	v_mul_f64 v[8:9], v[2:3], v[218:219]
	v_fma_f64 v[220:221], v[0:1], v[216:217], -v[8:9]
	v_add_co_u32_e32 v8, vcc, s6, v10
	v_mul_f64 v[222:223], v[0:1], v[218:219]
	s_nop 0
	v_addc_co_u32_e32 v9, vcc, 0, v11, vcc
	v_fmac_f64_e32 v[222:223], v[2:3], v[216:217]
	global_load_dwordx4 v[216:219], v[8:9], off offset:3616
	ds_read_b128 v[0:3], v28 offset:38880
	ds_write_b128 v28, v[220:223] offset:31104
	s_mov_b32 s6, 0xe000
	s_waitcnt vmcnt(0) lgkmcnt(1)
	v_mul_f64 v[8:9], v[2:3], v[218:219]
	v_mul_f64 v[222:223], v[0:1], v[218:219]
	v_fma_f64 v[220:221], v[0:1], v[216:217], -v[8:9]
	v_fmac_f64_e32 v[222:223], v[2:3], v[216:217]
	global_load_dwordx4 v[216:219], v[4:5], off offset:3888
	ds_read_b128 v[0:3], v28 offset:3888
	ds_write_b128 v28, v[220:223] offset:38880
	s_waitcnt vmcnt(0) lgkmcnt(1)
	v_mul_f64 v[4:5], v[2:3], v[218:219]
	v_fma_f64 v[220:221], v[0:1], v[216:217], -v[4:5]
	v_add_co_u32_e32 v4, vcc, s6, v10
	v_mul_f64 v[222:223], v[0:1], v[218:219]
	s_nop 0
	v_addc_co_u32_e32 v5, vcc, 0, v11, vcc
	v_fmac_f64_e32 v[222:223], v[2:3], v[216:217]
	global_load_dwordx4 v[216:219], v[4:5], off offset:976
	ds_read_b128 v[0:3], v28 offset:11664
	s_mov_b32 s6, 0x10000
	ds_write_b128 v28, v[220:223] offset:3888
	s_waitcnt vmcnt(0) lgkmcnt(1)
	v_mul_f64 v[4:5], v[2:3], v[218:219]
	v_fma_f64 v[220:221], v[0:1], v[216:217], -v[4:5]
	v_add_co_u32_e32 v4, vcc, s6, v10
	v_mul_f64 v[222:223], v[0:1], v[218:219]
	s_nop 0
	v_addc_co_u32_e32 v5, vcc, 0, v11, vcc
	v_fmac_f64_e32 v[222:223], v[2:3], v[216:217]
	global_load_dwordx4 v[216:219], v[4:5], off offset:560
	ds_read_b128 v[0:3], v28 offset:19440
	ds_write_b128 v28, v[220:223] offset:11664
	s_mov_b32 s6, 0x13000
	s_waitcnt vmcnt(0) lgkmcnt(1)
	v_mul_f64 v[4:5], v[2:3], v[218:219]
	v_fma_f64 v[220:221], v[0:1], v[216:217], -v[4:5]
	global_load_dwordx4 v[4:7], v[6:7], off offset:144
	v_mul_f64 v[222:223], v[0:1], v[218:219]
	v_fmac_f64_e32 v[222:223], v[2:3], v[216:217]
	ds_read_b128 v[0:3], v28 offset:27216
	ds_write_b128 v28, v[220:223] offset:19440
	s_waitcnt vmcnt(0) lgkmcnt(1)
	v_mul_f64 v[8:9], v[2:3], v[6:7]
	v_mul_f64 v[218:219], v[0:1], v[6:7]
	v_fma_f64 v[216:217], v[0:1], v[4:5], -v[8:9]
	v_fmac_f64_e32 v[218:219], v[2:3], v[4:5]
	v_add_co_u32_e32 v4, vcc, s6, v10
	ds_read_b128 v[0:3], v28 offset:34992
	s_nop 0
	v_addc_co_u32_e32 v5, vcc, 0, v11, vcc
	global_load_dwordx4 v[4:7], v[4:5], off offset:3824
	s_mov_b32 s6, 0x15000
	ds_write_b128 v28, v[216:219] offset:27216
	s_waitcnt vmcnt(0) lgkmcnt(1)
	v_mul_f64 v[8:9], v[2:3], v[6:7]
	v_fma_f64 v[216:217], v[0:1], v[4:5], -v[8:9]
	v_mul_f64 v[218:219], v[0:1], v[6:7]
	v_add_co_u32_e32 v0, vcc, s6, v10
	v_fmac_f64_e32 v[218:219], v[2:3], v[4:5]
	s_nop 0
	v_addc_co_u32_e32 v1, vcc, 0, v11, vcc
	global_load_dwordx4 v[0:3], v[0:1], off offset:3408
	ds_write_b128 v28, v[216:219] offset:34992
	ds_read_b128 v[216:219], v28 offset:42768
	s_waitcnt vmcnt(0) lgkmcnt(0)
	v_mul_f64 v[4:5], v[218:219], v[2:3]
	v_mul_f64 v[6:7], v[216:217], v[2:3]
	v_fma_f64 v[4:5], v[216:217], v[0:1], -v[4:5]
	v_fmac_f64_e32 v[6:7], v[218:219], v[0:1]
	ds_write_b128 v28, v[4:7] offset:42768
	s_waitcnt lgkmcnt(0)
	s_barrier
	ds_read_b128 v[244:247], v28
	ds_read_b128 v[0:3], v28 offset:7776
	ds_read_b128 v[224:227], v28 offset:15552
	;; [unrolled: 1-line block ×11, first 2 shown]
	s_waitcnt lgkmcnt(9)
	v_add_f64 v[8:9], v[244:245], v[224:225]
	s_waitcnt lgkmcnt(7)
	v_add_f64 v[10:11], v[8:9], v[240:241]
	v_add_f64 v[8:9], v[224:225], v[240:241]
	v_fmac_f64_e32 v[244:245], -0.5, v[8:9]
	v_add_f64 v[8:9], v[226:227], -v[242:243]
	v_fma_f64 v[14:15], s[4:5], v[8:9], v[244:245]
	v_fmac_f64_e32 v[244:245], s[2:3], v[8:9]
	v_add_f64 v[8:9], v[246:247], v[226:227]
	v_add_f64 v[12:13], v[8:9], v[242:243]
	;; [unrolled: 1-line block ×3, first 2 shown]
	v_fmac_f64_e32 v[246:247], -0.5, v[8:9]
	v_add_f64 v[8:9], v[224:225], -v[240:241]
	s_waitcnt lgkmcnt(6)
	v_add_f64 v[18:19], v[228:229], v[4:5]
	v_fma_f64 v[16:17], s[2:3], v[8:9], v[246:247]
	v_fmac_f64_e32 v[246:247], s[4:5], v[8:9]
	v_add_f64 v[8:9], v[0:1], v[228:229]
	v_fmac_f64_e32 v[0:1], -0.5, v[18:19]
	v_add_f64 v[18:19], v[230:231], -v[6:7]
	v_fma_f64 v[20:21], s[4:5], v[18:19], v[0:1]
	v_fmac_f64_e32 v[0:1], s[2:3], v[18:19]
	v_add_f64 v[18:19], v[2:3], v[230:231]
	v_add_f64 v[18:19], v[18:19], v[6:7]
	;; [unrolled: 1-line block ×4, first 2 shown]
	v_fmac_f64_e32 v[2:3], -0.5, v[6:7]
	v_add_f64 v[4:5], v[228:229], -v[4:5]
	v_fma_f64 v[6:7], s[2:3], v[4:5], v[2:3]
	v_fmac_f64_e32 v[2:3], s[4:5], v[4:5]
	v_mul_f64 v[4:5], v[6:7], s[4:5]
	v_mul_f64 v[6:7], v[6:7], 0.5
	v_fmac_f64_e32 v[4:5], 0.5, v[20:21]
	v_mul_f64 v[22:23], v[2:3], s[4:5]
	v_fmac_f64_e32 v[6:7], s[2:3], v[20:21]
	v_mul_f64 v[20:21], v[2:3], -0.5
	v_add_f64 v[228:229], v[10:11], v[8:9]
	v_fmac_f64_e32 v[22:23], -0.5, v[0:1]
	v_fmac_f64_e32 v[20:21], s[2:3], v[0:1]
	v_add_f64 v[0:1], v[10:11], -v[8:9]
	s_waitcnt lgkmcnt(1)
	v_add_f64 v[10:11], v[248:249], v[252:253]
	v_add_f64 v[8:9], v[216:217], v[248:249]
	v_fmac_f64_e32 v[216:217], -0.5, v[10:11]
	v_add_f64 v[10:11], v[250:251], -v[254:255]
	v_add_f64 v[226:227], v[16:17], v[6:7]
	v_add_f64 v[6:7], v[16:17], -v[6:7]
	v_fma_f64 v[16:17], s[4:5], v[10:11], v[216:217]
	v_fmac_f64_e32 v[216:217], s[2:3], v[10:11]
	v_add_f64 v[10:11], v[218:219], v[250:251]
	v_add_f64 v[230:231], v[12:13], v[18:19]
	v_add_f64 v[2:3], v[12:13], -v[18:19]
	v_add_f64 v[18:19], v[10:11], v[254:255]
	v_add_f64 v[10:11], v[250:251], v[254:255]
	v_fmac_f64_e32 v[218:219], -0.5, v[10:11]
	v_add_f64 v[10:11], v[248:249], -v[252:253]
	v_add_f64 v[242:243], v[246:247], v[20:21]
	v_add_f64 v[246:247], v[246:247], -v[20:21]
	v_fma_f64 v[20:21], s[2:3], v[10:11], v[218:219]
	v_fmac_f64_e32 v[218:219], s[4:5], v[10:11]
	v_add_f64 v[10:11], v[220:221], v[232:233]
	v_add_f64 v[224:225], v[14:15], v[4:5]
	v_add_f64 v[4:5], v[14:15], -v[4:5]
	s_waitcnt lgkmcnt(0)
	v_add_f64 v[14:15], v[10:11], v[236:237]
	v_add_f64 v[10:11], v[232:233], v[236:237]
	v_fmac_f64_e32 v[220:221], -0.5, v[10:11]
	v_add_f64 v[10:11], v[234:235], -v[238:239]
	v_fma_f64 v[12:13], s[4:5], v[10:11], v[220:221]
	v_fmac_f64_e32 v[220:221], s[2:3], v[10:11]
	v_add_f64 v[10:11], v[222:223], v[234:235]
	v_add_f64 v[240:241], v[244:245], v[22:23]
	v_add_f64 v[244:245], v[244:245], -v[22:23]
	v_add_f64 v[22:23], v[10:11], v[238:239]
	v_add_f64 v[10:11], v[234:235], v[238:239]
	v_fmac_f64_e32 v[222:223], -0.5, v[10:11]
	v_add_f64 v[10:11], v[232:233], -v[236:237]
	v_fma_f64 v[24:25], s[2:3], v[10:11], v[222:223]
	v_fmac_f64_e32 v[222:223], s[4:5], v[10:11]
	v_mul_f64 v[30:31], v[24:25], s[4:5]
	v_mul_f64 v[248:249], v[222:223], s[4:5]
	v_mul_f64 v[24:25], v[24:25], 0.5
	v_mul_f64 v[250:251], v[222:223], -0.5
	v_add_f64 v[8:9], v[8:9], v[252:253]
	v_fmac_f64_e32 v[30:31], 0.5, v[12:13]
	v_fmac_f64_e32 v[248:249], -0.5, v[220:221]
	v_fmac_f64_e32 v[24:25], s[2:3], v[12:13]
	v_fmac_f64_e32 v[250:251], s[2:3], v[220:221]
	v_add_f64 v[236:237], v[8:9], v[14:15]
	v_add_f64 v[232:233], v[16:17], v[30:31]
	;; [unrolled: 1-line block ×6, first 2 shown]
	v_add_f64 v[14:15], v[8:9], -v[14:15]
	v_add_f64 v[220:221], v[16:17], -v[30:31]
	v_add_f64 v[216:217], v[216:217], -v[248:249]
	v_add_f64 v[16:17], v[18:19], -v[22:23]
	v_add_f64 v[222:223], v[20:21], -v[24:25]
	v_add_f64 v[218:219], v[218:219], -v[250:251]
	s_barrier
	ds_write_b128 v37, v[228:231]
	ds_write_b128 v37, v[224:227] offset:16
	ds_write_b128 v37, v[240:243] offset:32
	;; [unrolled: 1-line block ×5, first 2 shown]
	ds_write_b128 v36, v[236:239]
	ds_write_b128 v36, v[232:235] offset:16
	ds_write_b128 v36, v[10:13] offset:32
	;; [unrolled: 1-line block ×5, first 2 shown]
	s_waitcnt lgkmcnt(0)
	s_barrier
	ds_read_b128 v[220:223], v28
	ds_read_b128 v[0:3], v28 offset:7776
	ds_read_b128 v[4:7], v28 offset:15552
	;; [unrolled: 1-line block ×11, first 2 shown]
	s_waitcnt lgkmcnt(10)
	v_mul_f64 v[8:9], v[66:67], v[2:3]
	v_fmac_f64_e32 v[8:9], v[64:65], v[0:1]
	v_mul_f64 v[0:1], v[66:67], v[0:1]
	v_fma_f64 v[18:19], v[64:65], v[2:3], -v[0:1]
	s_waitcnt lgkmcnt(9)
	v_mul_f64 v[0:1], v[58:59], v[6:7]
	v_mul_f64 v[2:3], v[58:59], v[4:5]
	v_fmac_f64_e32 v[0:1], v[56:57], v[4:5]
	v_fma_f64 v[2:3], v[56:57], v[6:7], -v[2:3]
	s_waitcnt lgkmcnt(8)
	v_mul_f64 v[4:5], v[54:55], v[12:13]
	v_mul_f64 v[6:7], v[54:55], v[10:11]
	v_fmac_f64_e32 v[4:5], v[52:53], v[10:11]
	;; [unrolled: 5-line block ×3, first 2 shown]
	v_fma_f64 v[16:17], v[48:49], v[16:17], -v[10:11]
	s_waitcnt lgkmcnt(2)
	v_mul_f64 v[48:49], v[74:75], v[236:237]
	v_fma_f64 v[64:65], v[72:73], v[238:239], -v[48:49]
	s_waitcnt lgkmcnt(1)
	v_mul_f64 v[66:67], v[70:71], v[242:243]
	v_mul_f64 v[48:49], v[70:71], v[240:241]
	;; [unrolled: 1-line block ×3, first 2 shown]
	v_fmac_f64_e32 v[66:67], v[68:69], v[240:241]
	v_fma_f64 v[68:69], v[68:69], v[242:243], -v[48:49]
	s_waitcnt lgkmcnt(0)
	v_mul_f64 v[48:49], v[90:91], v[244:245]
	v_fmac_f64_e32 v[36:37], v[72:73], v[236:237]
	v_fma_f64 v[72:73], v[88:89], v[246:247], -v[48:49]
	v_add_f64 v[48:49], v[220:221], v[0:1]
	v_add_f64 v[52:53], v[48:49], v[12:13]
	;; [unrolled: 1-line block ×3, first 2 shown]
	v_fmac_f64_e32 v[220:221], -0.5, v[48:49]
	v_add_f64 v[48:49], v[2:3], -v[16:17]
	v_fma_f64 v[54:55], s[4:5], v[48:49], v[220:221]
	v_fmac_f64_e32 v[220:221], s[2:3], v[48:49]
	v_add_f64 v[48:49], v[222:223], v[2:3]
	v_add_f64 v[2:3], v[2:3], v[16:17]
	v_mul_f64 v[20:21], v[62:63], v[226:227]
	v_fmac_f64_e32 v[222:223], -0.5, v[2:3]
	v_add_f64 v[0:1], v[0:1], -v[12:13]
	v_fmac_f64_e32 v[20:21], v[60:61], v[224:225]
	v_mul_f64 v[10:11], v[62:63], v[224:225]
	v_fma_f64 v[12:13], s[2:3], v[0:1], v[222:223]
	v_fmac_f64_e32 v[222:223], s[4:5], v[0:1]
	v_add_f64 v[0:1], v[8:9], v[4:5]
	v_fma_f64 v[22:23], v[60:61], v[226:227], -v[10:11]
	v_add_f64 v[58:59], v[48:49], v[16:17]
	v_add_f64 v[16:17], v[0:1], v[20:21]
	;; [unrolled: 1-line block ×3, first 2 shown]
	v_fmac_f64_e32 v[8:9], -0.5, v[0:1]
	v_add_f64 v[0:1], v[6:7], -v[22:23]
	v_fma_f64 v[2:3], s[4:5], v[0:1], v[8:9]
	v_fmac_f64_e32 v[8:9], s[2:3], v[0:1]
	v_add_f64 v[0:1], v[18:19], v[6:7]
	v_add_f64 v[62:63], v[0:1], v[22:23]
	;; [unrolled: 1-line block ×3, first 2 shown]
	v_fmac_f64_e32 v[18:19], -0.5, v[0:1]
	v_add_f64 v[0:1], v[4:5], -v[20:21]
	v_fma_f64 v[20:21], s[2:3], v[0:1], v[18:19]
	v_mul_f64 v[24:25], v[78:79], v[234:235]
	v_mul_f64 v[22:23], v[20:21], s[4:5]
	v_mul_f64 v[20:21], v[20:21], 0.5
	v_fmac_f64_e32 v[24:25], v[76:77], v[232:233]
	v_mul_f64 v[30:31], v[78:79], v[232:233]
	v_fmac_f64_e32 v[18:19], s[4:5], v[0:1]
	v_fmac_f64_e32 v[22:23], 0.5, v[2:3]
	v_fmac_f64_e32 v[20:21], s[2:3], v[2:3]
	v_fma_f64 v[30:31], v[76:77], v[234:235], -v[30:31]
	v_add_f64 v[4:5], v[52:53], v[16:17]
	v_add_f64 v[0:1], v[54:55], v[22:23]
	v_mul_f64 v[60:61], v[18:19], s[4:5]
	v_add_f64 v[2:3], v[12:13], v[20:21]
	v_mul_f64 v[18:19], v[18:19], -0.5
	v_add_f64 v[56:57], v[52:53], -v[16:17]
	v_add_f64 v[52:53], v[54:55], -v[22:23]
	;; [unrolled: 1-line block ×3, first 2 shown]
	v_add_f64 v[12:13], v[24:25], v[66:67]
	v_fmac_f64_e32 v[60:61], -0.5, v[8:9]
	v_fmac_f64_e32 v[18:19], s[2:3], v[8:9]
	v_add_f64 v[8:9], v[216:217], v[24:25]
	v_fmac_f64_e32 v[216:217], -0.5, v[12:13]
	v_add_f64 v[12:13], v[30:31], -v[68:69]
	v_fma_f64 v[16:17], s[4:5], v[12:13], v[216:217]
	v_fmac_f64_e32 v[216:217], s[2:3], v[12:13]
	v_add_f64 v[12:13], v[218:219], v[30:31]
	v_mul_f64 v[10:11], v[82:83], v[230:231]
	v_add_f64 v[6:7], v[58:59], v[62:63]
	v_add_f64 v[50:51], v[222:223], v[18:19]
	v_add_f64 v[58:59], v[58:59], -v[62:63]
	v_add_f64 v[62:63], v[222:223], -v[18:19]
	v_add_f64 v[18:19], v[12:13], v[68:69]
	v_add_f64 v[12:13], v[30:31], v[68:69]
	v_fmac_f64_e32 v[10:11], v[80:81], v[228:229]
	v_mul_f64 v[70:71], v[90:91], v[246:247]
	v_fmac_f64_e32 v[218:219], -0.5, v[12:13]
	v_add_f64 v[12:13], v[24:25], -v[66:67]
	v_fmac_f64_e32 v[70:71], v[88:89], v[244:245]
	v_fma_f64 v[20:21], s[2:3], v[12:13], v[218:219]
	v_fmac_f64_e32 v[218:219], s[4:5], v[12:13]
	v_add_f64 v[12:13], v[10:11], v[36:37]
	v_mul_f64 v[14:15], v[82:83], v[228:229]
	v_add_f64 v[22:23], v[12:13], v[70:71]
	v_add_f64 v[12:13], v[36:37], v[70:71]
	v_fma_f64 v[14:15], v[80:81], v[230:231], -v[14:15]
	v_fmac_f64_e32 v[10:11], -0.5, v[12:13]
	v_add_f64 v[12:13], v[64:65], -v[72:73]
	v_fma_f64 v[24:25], s[4:5], v[12:13], v[10:11]
	v_fmac_f64_e32 v[10:11], s[2:3], v[12:13]
	v_add_f64 v[12:13], v[14:15], v[64:65]
	v_add_f64 v[30:31], v[12:13], v[72:73]
	;; [unrolled: 1-line block ×3, first 2 shown]
	v_fmac_f64_e32 v[14:15], -0.5, v[12:13]
	v_add_f64 v[12:13], v[36:37], -v[70:71]
	v_fma_f64 v[36:37], s[2:3], v[12:13], v[14:15]
	v_fmac_f64_e32 v[14:15], s[4:5], v[12:13]
	v_mul_f64 v[74:75], v[36:37], s[4:5]
	v_mul_f64 v[36:37], v[36:37], 0.5
	v_fmac_f64_e32 v[74:75], 0.5, v[24:25]
	v_mul_f64 v[78:79], v[14:15], s[4:5]
	v_fmac_f64_e32 v[36:37], s[2:3], v[24:25]
	v_mul_f64 v[24:25], v[14:15], -0.5
	v_add_f64 v[8:9], v[8:9], v[66:67]
	v_fmac_f64_e32 v[78:79], -0.5, v[10:11]
	v_fmac_f64_e32 v[24:25], s[2:3], v[10:11]
	v_add_f64 v[48:49], v[220:221], v[60:61]
	v_add_f64 v[60:61], v[220:221], -v[60:61]
	v_add_f64 v[64:65], v[8:9], v[22:23]
	v_add_f64 v[68:69], v[16:17], v[74:75]
	v_add_f64 v[12:13], v[216:217], v[78:79]
	v_add_f64 v[66:67], v[18:19], v[30:31]
	v_add_f64 v[70:71], v[20:21], v[36:37]
	v_add_f64 v[14:15], v[218:219], v[24:25]
	v_add_f64 v[72:73], v[8:9], -v[22:23]
	v_add_f64 v[76:77], v[16:17], -v[74:75]
	;; [unrolled: 1-line block ×6, first 2 shown]
	s_barrier
	ds_write_b128 v34, v[4:7]
	ds_write_b128 v34, v[0:3] offset:96
	ds_write_b128 v34, v[48:51] offset:192
	;; [unrolled: 1-line block ×5, first 2 shown]
	ds_write_b128 v38, v[64:67]
	ds_write_b128 v38, v[68:71] offset:96
	ds_write_b128 v38, v[12:15] offset:192
	;; [unrolled: 1-line block ×5, first 2 shown]
	s_waitcnt lgkmcnt(0)
	s_barrier
	ds_read_b128 v[56:59], v28
	ds_read_b128 v[0:3], v28 offset:15552
	ds_read_b128 v[4:7], v28 offset:31104
	;; [unrolled: 1-line block ×11, first 2 shown]
	s_waitcnt lgkmcnt(10)
	v_mul_f64 v[8:9], v[94:95], v[2:3]
	v_fmac_f64_e32 v[8:9], v[92:93], v[0:1]
	v_mul_f64 v[0:1], v[94:95], v[0:1]
	v_fma_f64 v[22:23], v[92:93], v[2:3], -v[0:1]
	s_waitcnt lgkmcnt(9)
	v_mul_f64 v[0:1], v[86:87], v[4:5]
	v_mul_f64 v[24:25], v[86:87], v[6:7]
	v_fma_f64 v[6:7], v[84:85], v[6:7], -v[0:1]
	s_waitcnt lgkmcnt(7)
	v_mul_f64 v[0:1], v[102:103], v[10:11]
	v_fma_f64 v[36:37], v[100:101], v[12:13], -v[0:1]
	s_waitcnt lgkmcnt(6)
	v_mul_f64 v[0:1], v[98:99], v[14:15]
	v_mul_f64 v[76:77], v[98:99], v[16:17]
	v_fma_f64 v[16:17], v[96:97], v[16:17], -v[0:1]
	s_waitcnt lgkmcnt(4)
	v_mul_f64 v[0:1], v[110:111], v[18:19]
	v_fma_f64 v[80:81], v[108:109], v[20:21], -v[0:1]
	s_waitcnt lgkmcnt(3)
	v_mul_f64 v[0:1], v[106:107], v[64:65]
	v_fmac_f64_e32 v[24:25], v[84:85], v[4:5]
	v_mul_f64 v[82:83], v[106:107], v[66:67]
	v_fma_f64 v[66:67], v[104:105], v[66:67], -v[0:1]
	s_waitcnt lgkmcnt(1)
	v_mul_f64 v[0:1], v[118:119], v[68:69]
	v_fma_f64 v[86:87], v[116:117], v[70:71], -v[0:1]
	s_waitcnt lgkmcnt(0)
	v_mul_f64 v[0:1], v[114:115], v[72:73]
	v_add_f64 v[2:3], v[8:9], v[24:25]
	v_mul_f64 v[88:89], v[114:115], v[74:75]
	v_fma_f64 v[74:75], v[112:113], v[74:75], -v[0:1]
	v_add_f64 v[0:1], v[56:57], v[8:9]
	v_fmac_f64_e32 v[56:57], -0.5, v[2:3]
	v_add_f64 v[2:3], v[22:23], -v[6:7]
	v_fma_f64 v[4:5], s[4:5], v[2:3], v[56:57]
	v_fmac_f64_e32 v[56:57], s[2:3], v[2:3]
	v_add_f64 v[2:3], v[58:59], v[22:23]
	v_mul_f64 v[30:31], v[102:103], v[12:13]
	v_add_f64 v[2:3], v[2:3], v[6:7]
	v_add_f64 v[6:7], v[22:23], v[6:7]
	v_fmac_f64_e32 v[30:31], v[100:101], v[10:11]
	v_fmac_f64_e32 v[58:59], -0.5, v[6:7]
	v_add_f64 v[8:9], v[8:9], -v[24:25]
	v_fmac_f64_e32 v[76:77], v[96:97], v[14:15]
	v_fma_f64 v[6:7], s[2:3], v[8:9], v[58:59]
	v_fmac_f64_e32 v[58:59], s[4:5], v[8:9]
	v_add_f64 v[8:9], v[52:53], v[30:31]
	v_add_f64 v[10:11], v[8:9], v[76:77]
	v_add_f64 v[8:9], v[30:31], v[76:77]
	v_fmac_f64_e32 v[52:53], -0.5, v[8:9]
	v_add_f64 v[8:9], v[36:37], -v[16:17]
	v_fma_f64 v[14:15], s[4:5], v[8:9], v[52:53]
	v_fmac_f64_e32 v[52:53], s[2:3], v[8:9]
	v_add_f64 v[8:9], v[54:55], v[36:37]
	v_mul_f64 v[78:79], v[110:111], v[20:21]
	v_add_f64 v[12:13], v[8:9], v[16:17]
	v_add_f64 v[8:9], v[36:37], v[16:17]
	v_fmac_f64_e32 v[78:79], v[108:109], v[18:19]
	v_fmac_f64_e32 v[54:55], -0.5, v[8:9]
	v_add_f64 v[8:9], v[30:31], -v[76:77]
	v_fmac_f64_e32 v[82:83], v[104:105], v[64:65]
	v_fma_f64 v[16:17], s[2:3], v[8:9], v[54:55]
	v_fmac_f64_e32 v[54:55], s[4:5], v[8:9]
	v_add_f64 v[8:9], v[48:49], v[78:79]
	v_add_f64 v[18:19], v[8:9], v[82:83]
	;; [unrolled: 17-line block ×3, first 2 shown]
	v_add_f64 v[8:9], v[84:85], v[88:89]
	v_fmac_f64_e32 v[60:61], -0.5, v[8:9]
	v_add_f64 v[8:9], v[86:87], -v[74:75]
	v_fma_f64 v[72:73], s[4:5], v[8:9], v[60:61]
	v_fmac_f64_e32 v[60:61], s[2:3], v[8:9]
	v_add_f64 v[8:9], v[62:63], v[86:87]
	v_add_f64 v[70:71], v[8:9], v[74:75]
	;; [unrolled: 1-line block ×3, first 2 shown]
	v_fmac_f64_e32 v[62:63], -0.5, v[8:9]
	v_add_f64 v[8:9], v[84:85], -v[88:89]
	v_add_f64 v[0:1], v[0:1], v[24:25]
	v_fma_f64 v[74:75], s[2:3], v[8:9], v[62:63]
	v_fmac_f64_e32 v[62:63], s[4:5], v[8:9]
	v_accvgpr_read_b32 v8, a44
	s_barrier
	ds_write_b128 v8, v[0:3]
	ds_write_b128 v8, v[4:7] offset:576
	ds_write_b128 v8, v[56:59] offset:1152
	v_accvgpr_read_b32 v0, a45
	ds_write_b128 v0, v[10:13]
	ds_write_b128 v0, v[14:17] offset:576
	ds_write_b128 v0, v[52:55] offset:1152
	v_accvgpr_read_b32 v0, a47
	;; [unrolled: 4-line block ×3, first 2 shown]
	ds_write_b128 v0, v[68:71]
	ds_write_b128 v0, v[72:75] offset:576
	ds_write_b128 v0, v[60:63] offset:1152
	s_waitcnt lgkmcnt(0)
	s_barrier
	ds_read_b128 v[56:59], v28
	ds_read_b128 v[0:3], v28 offset:15552
	ds_read_b128 v[4:7], v28 offset:31104
	ds_read_b128 v[52:55], v28 offset:3888
	ds_read_b128 v[10:13], v28 offset:19440
	ds_read_b128 v[14:17], v28 offset:34992
	ds_read_b128 v[48:51], v28 offset:7776
	ds_read_b128 v[18:21], v28 offset:23328
	ds_read_b128 v[64:67], v28 offset:38880
	ds_read_b128 v[60:63], v28 offset:11664
	ds_read_b128 v[68:71], v28 offset:27216
	ds_read_b128 v[72:75], v28 offset:42768
	s_waitcnt lgkmcnt(10)
	v_mul_f64 v[8:9], v[126:127], v[2:3]
	v_fmac_f64_e32 v[8:9], v[124:125], v[0:1]
	v_mul_f64 v[0:1], v[126:127], v[0:1]
	v_fma_f64 v[22:23], v[124:125], v[2:3], -v[0:1]
	s_waitcnt lgkmcnt(9)
	v_mul_f64 v[0:1], v[122:123], v[4:5]
	v_mul_f64 v[24:25], v[122:123], v[6:7]
	v_fma_f64 v[6:7], v[120:121], v[6:7], -v[0:1]
	s_waitcnt lgkmcnt(7)
	v_mul_f64 v[0:1], v[134:135], v[10:11]
	v_fma_f64 v[36:37], v[132:133], v[12:13], -v[0:1]
	s_waitcnt lgkmcnt(6)
	v_mul_f64 v[0:1], v[130:131], v[14:15]
	v_mul_f64 v[76:77], v[130:131], v[16:17]
	v_fma_f64 v[16:17], v[128:129], v[16:17], -v[0:1]
	s_waitcnt lgkmcnt(4)
	v_mul_f64 v[0:1], v[142:143], v[18:19]
	v_fma_f64 v[80:81], v[140:141], v[20:21], -v[0:1]
	s_waitcnt lgkmcnt(3)
	v_mul_f64 v[0:1], v[138:139], v[64:65]
	v_fmac_f64_e32 v[24:25], v[120:121], v[4:5]
	v_mul_f64 v[82:83], v[138:139], v[66:67]
	v_fma_f64 v[66:67], v[136:137], v[66:67], -v[0:1]
	s_waitcnt lgkmcnt(1)
	v_mul_f64 v[0:1], v[150:151], v[68:69]
	v_fma_f64 v[86:87], v[148:149], v[70:71], -v[0:1]
	s_waitcnt lgkmcnt(0)
	v_mul_f64 v[0:1], v[146:147], v[72:73]
	v_add_f64 v[2:3], v[8:9], v[24:25]
	v_mul_f64 v[88:89], v[146:147], v[74:75]
	v_fma_f64 v[74:75], v[144:145], v[74:75], -v[0:1]
	v_add_f64 v[0:1], v[56:57], v[8:9]
	v_fmac_f64_e32 v[56:57], -0.5, v[2:3]
	v_add_f64 v[2:3], v[22:23], -v[6:7]
	v_fma_f64 v[4:5], s[4:5], v[2:3], v[56:57]
	v_fmac_f64_e32 v[56:57], s[2:3], v[2:3]
	v_add_f64 v[2:3], v[58:59], v[22:23]
	v_mul_f64 v[30:31], v[134:135], v[12:13]
	v_add_f64 v[2:3], v[2:3], v[6:7]
	v_add_f64 v[6:7], v[22:23], v[6:7]
	v_fmac_f64_e32 v[30:31], v[132:133], v[10:11]
	v_fmac_f64_e32 v[58:59], -0.5, v[6:7]
	v_add_f64 v[8:9], v[8:9], -v[24:25]
	v_fmac_f64_e32 v[76:77], v[128:129], v[14:15]
	v_fma_f64 v[6:7], s[2:3], v[8:9], v[58:59]
	v_fmac_f64_e32 v[58:59], s[4:5], v[8:9]
	v_add_f64 v[8:9], v[52:53], v[30:31]
	v_add_f64 v[10:11], v[8:9], v[76:77]
	v_add_f64 v[8:9], v[30:31], v[76:77]
	v_fmac_f64_e32 v[52:53], -0.5, v[8:9]
	v_add_f64 v[8:9], v[36:37], -v[16:17]
	v_fma_f64 v[14:15], s[4:5], v[8:9], v[52:53]
	v_fmac_f64_e32 v[52:53], s[2:3], v[8:9]
	v_add_f64 v[8:9], v[54:55], v[36:37]
	v_mul_f64 v[78:79], v[142:143], v[20:21]
	v_add_f64 v[12:13], v[8:9], v[16:17]
	v_add_f64 v[8:9], v[36:37], v[16:17]
	v_fmac_f64_e32 v[78:79], v[140:141], v[18:19]
	v_fmac_f64_e32 v[54:55], -0.5, v[8:9]
	v_add_f64 v[8:9], v[30:31], -v[76:77]
	v_fmac_f64_e32 v[82:83], v[136:137], v[64:65]
	v_fma_f64 v[16:17], s[2:3], v[8:9], v[54:55]
	v_fmac_f64_e32 v[54:55], s[4:5], v[8:9]
	v_add_f64 v[8:9], v[48:49], v[78:79]
	v_add_f64 v[18:19], v[8:9], v[82:83]
	;; [unrolled: 17-line block ×3, first 2 shown]
	v_add_f64 v[8:9], v[84:85], v[88:89]
	v_fmac_f64_e32 v[60:61], -0.5, v[8:9]
	v_add_f64 v[8:9], v[86:87], -v[74:75]
	v_fma_f64 v[72:73], s[4:5], v[8:9], v[60:61]
	v_fmac_f64_e32 v[60:61], s[2:3], v[8:9]
	v_add_f64 v[8:9], v[62:63], v[86:87]
	v_add_f64 v[70:71], v[8:9], v[74:75]
	;; [unrolled: 1-line block ×3, first 2 shown]
	v_fmac_f64_e32 v[62:63], -0.5, v[8:9]
	v_add_f64 v[8:9], v[84:85], -v[88:89]
	v_add_f64 v[0:1], v[0:1], v[24:25]
	v_fma_f64 v[74:75], s[2:3], v[8:9], v[62:63]
	v_fmac_f64_e32 v[62:63], s[4:5], v[8:9]
	v_accvgpr_read_b32 v8, a50
	s_barrier
	ds_write_b128 v8, v[0:3]
	ds_write_b128 v8, v[4:7] offset:1728
	ds_write_b128 v8, v[56:59] offset:3456
	v_accvgpr_read_b32 v0, a48
	ds_write_b128 v0, v[10:13]
	ds_write_b128 v0, v[14:17] offset:1728
	ds_write_b128 v0, v[52:55] offset:3456
	v_accvgpr_read_b32 v0, a49
	ds_write_b128 v0, v[18:21]
	ds_write_b128 v0, v[64:67] offset:1728
	ds_write_b128 v0, v[48:51] offset:3456
	ds_write_b128 v39, v[68:71]
	ds_write_b128 v39, v[72:75] offset:1728
	ds_write_b128 v39, v[60:63] offset:3456
	s_waitcnt lgkmcnt(0)
	s_barrier
	ds_read_b128 v[0:3], v28
	ds_read_b128 v[10:13], v28 offset:15552
	ds_read_b128 v[14:17], v28 offset:31104
	;; [unrolled: 1-line block ×11, first 2 shown]
	s_waitcnt lgkmcnt(10)
	v_mul_f64 v[8:9], v[154:155], v[12:13]
	v_fmac_f64_e32 v[8:9], v[152:153], v[10:11]
	v_mul_f64 v[10:11], v[154:155], v[10:11]
	v_fma_f64 v[22:23], v[152:153], v[12:13], -v[10:11]
	s_waitcnt lgkmcnt(9)
	v_mul_f64 v[10:11], v[158:159], v[14:15]
	v_mul_f64 v[24:25], v[158:159], v[16:17]
	v_fma_f64 v[16:17], v[156:157], v[16:17], -v[10:11]
	s_waitcnt lgkmcnt(7)
	v_mul_f64 v[10:11], v[162:163], v[18:19]
	v_fma_f64 v[36:37], v[160:161], v[20:21], -v[10:11]
	s_waitcnt lgkmcnt(6)
	v_mul_f64 v[10:11], v[166:167], v[56:57]
	v_mul_f64 v[38:39], v[166:167], v[58:59]
	v_fma_f64 v[58:59], v[164:165], v[58:59], -v[10:11]
	s_waitcnt lgkmcnt(4)
	v_mul_f64 v[10:11], v[170:171], v[60:61]
	v_fma_f64 v[78:79], v[168:169], v[62:63], -v[10:11]
	s_waitcnt lgkmcnt(3)
	v_mul_f64 v[10:11], v[174:175], v[64:65]
	v_fmac_f64_e32 v[24:25], v[156:157], v[14:15]
	v_mul_f64 v[80:81], v[174:175], v[66:67]
	v_fma_f64 v[66:67], v[172:173], v[66:67], -v[10:11]
	s_waitcnt lgkmcnt(1)
	v_mul_f64 v[10:11], v[182:183], v[68:69]
	v_fma_f64 v[84:85], v[180:181], v[70:71], -v[10:11]
	s_waitcnt lgkmcnt(0)
	v_mul_f64 v[10:11], v[178:179], v[72:73]
	v_add_f64 v[12:13], v[8:9], v[24:25]
	v_mul_f64 v[86:87], v[178:179], v[74:75]
	v_fma_f64 v[74:75], v[176:177], v[74:75], -v[10:11]
	v_add_f64 v[10:11], v[0:1], v[8:9]
	v_fmac_f64_e32 v[0:1], -0.5, v[12:13]
	v_add_f64 v[12:13], v[22:23], -v[16:17]
	v_fma_f64 v[14:15], s[4:5], v[12:13], v[0:1]
	v_fmac_f64_e32 v[0:1], s[2:3], v[12:13]
	v_add_f64 v[12:13], v[2:3], v[22:23]
	v_mul_f64 v[30:31], v[162:163], v[20:21]
	v_add_f64 v[12:13], v[12:13], v[16:17]
	v_add_f64 v[16:17], v[22:23], v[16:17]
	v_fmac_f64_e32 v[30:31], v[160:161], v[18:19]
	v_fmac_f64_e32 v[2:3], -0.5, v[16:17]
	v_add_f64 v[8:9], v[8:9], -v[24:25]
	v_fmac_f64_e32 v[38:39], v[164:165], v[56:57]
	v_fma_f64 v[16:17], s[2:3], v[8:9], v[2:3]
	v_fmac_f64_e32 v[2:3], s[4:5], v[8:9]
	v_add_f64 v[8:9], v[4:5], v[30:31]
	v_add_f64 v[18:19], v[8:9], v[38:39]
	v_add_f64 v[8:9], v[30:31], v[38:39]
	v_fmac_f64_e32 v[4:5], -0.5, v[8:9]
	v_add_f64 v[8:9], v[36:37], -v[58:59]
	v_fma_f64 v[56:57], s[4:5], v[8:9], v[4:5]
	v_fmac_f64_e32 v[4:5], s[2:3], v[8:9]
	v_add_f64 v[8:9], v[6:7], v[36:37]
	v_mul_f64 v[76:77], v[170:171], v[62:63]
	v_add_f64 v[20:21], v[8:9], v[58:59]
	v_add_f64 v[8:9], v[36:37], v[58:59]
	v_fmac_f64_e32 v[76:77], v[168:169], v[60:61]
	v_fmac_f64_e32 v[6:7], -0.5, v[8:9]
	v_add_f64 v[8:9], v[30:31], -v[38:39]
	v_fmac_f64_e32 v[80:81], v[172:173], v[64:65]
	v_fma_f64 v[58:59], s[2:3], v[8:9], v[6:7]
	v_fmac_f64_e32 v[6:7], s[4:5], v[8:9]
	v_add_f64 v[8:9], v[48:49], v[76:77]
	v_add_f64 v[60:61], v[8:9], v[80:81]
	;; [unrolled: 17-line block ×3, first 2 shown]
	v_add_f64 v[8:9], v[82:83], v[86:87]
	v_fmac_f64_e32 v[52:53], -0.5, v[8:9]
	v_add_f64 v[8:9], v[84:85], -v[74:75]
	v_fma_f64 v[72:73], s[4:5], v[8:9], v[52:53]
	v_fmac_f64_e32 v[52:53], s[2:3], v[8:9]
	v_add_f64 v[8:9], v[54:55], v[84:85]
	v_add_f64 v[70:71], v[8:9], v[74:75]
	;; [unrolled: 1-line block ×3, first 2 shown]
	v_fmac_f64_e32 v[54:55], -0.5, v[8:9]
	v_add_f64 v[8:9], v[82:83], -v[86:87]
	v_add_f64 v[10:11], v[10:11], v[24:25]
	v_fma_f64 v[74:75], s[2:3], v[8:9], v[54:55]
	v_fmac_f64_e32 v[54:55], s[4:5], v[8:9]
	s_barrier
	ds_write_b128 v28, v[10:13]
	ds_write_b128 v28, v[14:17] offset:5184
	ds_write_b128 v28, v[0:3] offset:10368
	ds_write_b128 v33, v[18:21]
	ds_write_b128 v33, v[56:59] offset:5184
	ds_write_b128 v33, v[4:7] offset:10368
	;; [unrolled: 3-line block ×3, first 2 shown]
	ds_write_b128 v27, v[68:71] offset:31104
	ds_write_b128 v27, v[72:75] offset:36288
	;; [unrolled: 1-line block ×3, first 2 shown]
	s_waitcnt lgkmcnt(0)
	s_barrier
	ds_read_b128 v[0:3], v28
	ds_read_b128 v[10:13], v28 offset:15552
	ds_read_b128 v[14:17], v28 offset:31104
	;; [unrolled: 1-line block ×11, first 2 shown]
	s_waitcnt lgkmcnt(10)
	v_mul_f64 v[8:9], v[186:187], v[12:13]
	v_fmac_f64_e32 v[8:9], v[184:185], v[10:11]
	v_mul_f64 v[10:11], v[186:187], v[10:11]
	v_fma_f64 v[22:23], v[184:185], v[12:13], -v[10:11]
	s_waitcnt lgkmcnt(9)
	v_mul_f64 v[10:11], v[190:191], v[14:15]
	v_mul_f64 v[24:25], v[190:191], v[16:17]
	v_fma_f64 v[16:17], v[188:189], v[16:17], -v[10:11]
	s_waitcnt lgkmcnt(7)
	v_mul_f64 v[10:11], v[198:199], v[18:19]
	v_fma_f64 v[30:31], v[196:197], v[20:21], -v[10:11]
	s_waitcnt lgkmcnt(6)
	;; [unrolled: 3-line block ×4, first 2 shown]
	v_mul_f64 v[10:11], v[202:203], v[60:61]
	v_fmac_f64_e32 v[24:25], v[188:189], v[14:15]
	v_mul_f64 v[80:81], v[202:203], v[62:63]
	v_fma_f64 v[62:63], v[200:201], v[62:63], -v[10:11]
	s_waitcnt lgkmcnt(1)
	v_mul_f64 v[10:11], v[214:215], v[68:69]
	v_fma_f64 v[84:85], v[212:213], v[70:71], -v[10:11]
	s_waitcnt lgkmcnt(0)
	v_mul_f64 v[10:11], v[210:211], v[72:73]
	v_add_f64 v[12:13], v[8:9], v[24:25]
	v_mul_f64 v[86:87], v[210:211], v[74:75]
	v_fma_f64 v[74:75], v[208:209], v[74:75], -v[10:11]
	v_add_f64 v[10:11], v[0:1], v[8:9]
	v_fmac_f64_e32 v[0:1], -0.5, v[12:13]
	v_add_f64 v[12:13], v[22:23], -v[16:17]
	v_fma_f64 v[14:15], s[4:5], v[12:13], v[0:1]
	v_fmac_f64_e32 v[0:1], s[2:3], v[12:13]
	v_add_f64 v[12:13], v[2:3], v[22:23]
	v_mul_f64 v[26:27], v[198:199], v[20:21]
	v_add_f64 v[12:13], v[12:13], v[16:17]
	v_add_f64 v[16:17], v[22:23], v[16:17]
	v_fmac_f64_e32 v[26:27], v[196:197], v[18:19]
	v_mul_f64 v[36:37], v[194:195], v[54:55]
	v_fmac_f64_e32 v[2:3], -0.5, v[16:17]
	v_add_f64 v[8:9], v[8:9], -v[24:25]
	v_fmac_f64_e32 v[36:37], v[192:193], v[52:53]
	v_fma_f64 v[16:17], s[2:3], v[8:9], v[2:3]
	v_fmac_f64_e32 v[2:3], s[4:5], v[8:9]
	v_add_f64 v[8:9], v[4:5], v[26:27]
	v_add_f64 v[18:19], v[8:9], v[36:37]
	;; [unrolled: 1-line block ×3, first 2 shown]
	v_fmac_f64_e32 v[4:5], -0.5, v[8:9]
	v_add_f64 v[8:9], v[30:31], -v[38:39]
	v_fma_f64 v[52:53], s[4:5], v[8:9], v[4:5]
	v_fmac_f64_e32 v[4:5], s[2:3], v[8:9]
	v_add_f64 v[8:9], v[6:7], v[30:31]
	v_mul_f64 v[76:77], v[206:207], v[58:59]
	v_add_f64 v[20:21], v[8:9], v[38:39]
	v_add_f64 v[8:9], v[30:31], v[38:39]
	v_fmac_f64_e32 v[76:77], v[204:205], v[56:57]
	v_fmac_f64_e32 v[6:7], -0.5, v[8:9]
	v_add_f64 v[8:9], v[26:27], -v[36:37]
	v_fmac_f64_e32 v[80:81], v[200:201], v[60:61]
	v_fma_f64 v[54:55], s[2:3], v[8:9], v[6:7]
	v_fmac_f64_e32 v[6:7], s[4:5], v[8:9]
	v_add_f64 v[8:9], v[48:49], v[76:77]
	v_add_f64 v[56:57], v[8:9], v[80:81]
	;; [unrolled: 1-line block ×3, first 2 shown]
	v_fmac_f64_e32 v[48:49], -0.5, v[8:9]
	v_add_f64 v[8:9], v[78:79], -v[62:63]
	v_fma_f64 v[60:61], s[4:5], v[8:9], v[48:49]
	v_fmac_f64_e32 v[48:49], s[2:3], v[8:9]
	v_add_f64 v[8:9], v[50:51], v[78:79]
	v_mul_f64 v[82:83], v[214:215], v[70:71]
	v_add_f64 v[58:59], v[8:9], v[62:63]
	v_add_f64 v[8:9], v[78:79], v[62:63]
	v_fmac_f64_e32 v[82:83], v[212:213], v[68:69]
	v_fmac_f64_e32 v[50:51], -0.5, v[8:9]
	v_add_f64 v[8:9], v[76:77], -v[80:81]
	v_fmac_f64_e32 v[86:87], v[208:209], v[72:73]
	v_fma_f64 v[62:63], s[2:3], v[8:9], v[50:51]
	v_fmac_f64_e32 v[50:51], s[4:5], v[8:9]
	v_add_f64 v[8:9], v[64:65], v[82:83]
	v_add_f64 v[68:69], v[8:9], v[86:87]
	v_add_f64 v[8:9], v[82:83], v[86:87]
	v_fmac_f64_e32 v[64:65], -0.5, v[8:9]
	v_add_f64 v[8:9], v[84:85], -v[74:75]
	v_fma_f64 v[72:73], s[4:5], v[8:9], v[64:65]
	v_fmac_f64_e32 v[64:65], s[2:3], v[8:9]
	v_add_f64 v[8:9], v[66:67], v[84:85]
	v_add_f64 v[70:71], v[8:9], v[74:75]
	;; [unrolled: 1-line block ×4, first 2 shown]
	v_fmac_f64_e32 v[66:67], -0.5, v[8:9]
	v_add_f64 v[8:9], v[82:83], -v[86:87]
	v_fma_f64 v[74:75], s[2:3], v[8:9], v[66:67]
	v_fmac_f64_e32 v[66:67], s[4:5], v[8:9]
	ds_write_b128 v28, v[10:13]
	ds_write_b128 v28, v[14:17] offset:15552
	ds_write_b128 v28, v[0:3] offset:31104
	;; [unrolled: 1-line block ×11, first 2 shown]
	s_waitcnt lgkmcnt(0)
	s_barrier
	ds_read_b128 v[0:3], v28
	v_accvgpr_read_b32 v6, a8
	v_accvgpr_read_b32 v8, a10
	;; [unrolled: 1-line block ×4, first 2 shown]
	s_waitcnt lgkmcnt(0)
	v_mul_f64 v[4:5], v[8:9], v[2:3]
	v_fmac_f64_e32 v[4:5], v[6:7], v[0:1]
	s_mov_b32 s2, 0xe0bf08c7
	v_mul_f64 v[0:1], v[8:9], v[0:1]
	s_mov_b32 s3, 0x3f367980
	v_fma_f64 v[0:1], v[6:7], v[2:3], -v[0:1]
	v_mul_f64 v[6:7], v[0:1], s[2:3]
	v_mad_u64_u32 v[0:1], s[4:5], s0, v32, 0
	v_mov_b32_e32 v2, v1
	v_mad_u64_u32 v[2:3], s[4:5], s1, v32, v[2:3]
	v_mov_b32_e32 v1, v2
	v_accvgpr_read_b32 v3, a1
	v_accvgpr_read_b32 v9, a3
	;; [unrolled: 1-line block ×4, first 2 shown]
	v_lshl_add_u64 v[2:3], v[8:9], 4, v[2:3]
	v_lshl_add_u64 v[8:9], v[0:1], 4, v[2:3]
	ds_read_b128 v[0:3], v28 offset:7776
	v_accvgpr_read_b32 v10, a12
	v_mul_f64 v[4:5], v[4:5], s[2:3]
	v_accvgpr_read_b32 v12, a14
	v_accvgpr_read_b32 v13, a15
	global_store_dwordx4 v[8:9], v[4:7], off
	v_accvgpr_read_b32 v11, a13
	v_mad_u64_u32 v[8:9], s[4:5], s0, v35, v[8:9]
	s_waitcnt lgkmcnt(0)
	v_mul_f64 v[4:5], v[12:13], v[2:3]
	v_fmac_f64_e32 v[4:5], v[10:11], v[0:1]
	v_mul_f64 v[0:1], v[12:13], v[0:1]
	v_fma_f64 v[0:1], v[10:11], v[2:3], -v[0:1]
	v_mul_f64 v[6:7], v[0:1], s[2:3]
	ds_read_b128 v[0:3], v28 offset:15552
	s_mul_i32 s4, s1, 0x1e60
	v_accvgpr_read_b32 v10, a16
	v_mul_f64 v[4:5], v[4:5], s[2:3]
	v_add_u32_e32 v9, s4, v9
	v_accvgpr_read_b32 v12, a18
	v_accvgpr_read_b32 v13, a19
	global_store_dwordx4 v[8:9], v[4:7], off
	v_accvgpr_read_b32 v11, a17
	v_mad_u64_u32 v[8:9], s[6:7], s0, v35, v[8:9]
	s_waitcnt lgkmcnt(0)
	v_mul_f64 v[4:5], v[12:13], v[2:3]
	v_fmac_f64_e32 v[4:5], v[10:11], v[0:1]
	v_mul_f64 v[0:1], v[12:13], v[0:1]
	v_fma_f64 v[0:1], v[10:11], v[2:3], -v[0:1]
	v_mul_f64 v[6:7], v[0:1], s[2:3]
	ds_read_b128 v[0:3], v28 offset:23328
	v_accvgpr_read_b32 v10, a20
	v_mul_f64 v[4:5], v[4:5], s[2:3]
	v_add_u32_e32 v9, s4, v9
	v_accvgpr_read_b32 v12, a22
	v_accvgpr_read_b32 v13, a23
	global_store_dwordx4 v[8:9], v[4:7], off
	v_accvgpr_read_b32 v11, a21
	v_mad_u64_u32 v[8:9], s[6:7], s0, v35, v[8:9]
	s_waitcnt lgkmcnt(0)
	v_mul_f64 v[4:5], v[12:13], v[2:3]
	v_fmac_f64_e32 v[4:5], v[10:11], v[0:1]
	v_mul_f64 v[0:1], v[12:13], v[0:1]
	v_fma_f64 v[0:1], v[10:11], v[2:3], -v[0:1]
	v_mul_f64 v[6:7], v[0:1], s[2:3]
	ds_read_b128 v[0:3], v28 offset:31104
	;; [unrolled: 15-line block ×4, first 2 shown]
	v_accvgpr_read_b32 v10, a32
	v_mul_f64 v[4:5], v[4:5], s[2:3]
	v_add_u32_e32 v9, s4, v9
	v_accvgpr_read_b32 v12, a34
	v_accvgpr_read_b32 v13, a35
	global_store_dwordx4 v[8:9], v[4:7], off
	v_accvgpr_read_b32 v11, a33
	s_mul_i32 s1, s1, 0xffff7750
	s_waitcnt lgkmcnt(0)
	v_mul_f64 v[4:5], v[12:13], v[2:3]
	v_fmac_f64_e32 v[4:5], v[10:11], v[0:1]
	v_mul_f64 v[0:1], v[12:13], v[0:1]
	v_fma_f64 v[0:1], v[10:11], v[2:3], -v[0:1]
	v_mul_f64 v[6:7], v[0:1], s[2:3]
	v_mov_b32_e32 v0, 0xffff7750
	v_mad_u64_u32 v[8:9], s[6:7], s0, v0, v[8:9]
	ds_read_b128 v[0:3], v28 offset:11664
	s_sub_i32 s1, s1, s0
	v_accvgpr_read_b32 v10, a36
	v_mul_f64 v[4:5], v[4:5], s[2:3]
	v_add_u32_e32 v9, s1, v9
	v_accvgpr_read_b32 v12, a38
	v_accvgpr_read_b32 v13, a39
	global_store_dwordx4 v[8:9], v[4:7], off
	v_accvgpr_read_b32 v11, a37
	v_mad_u64_u32 v[8:9], s[6:7], s0, v35, v[8:9]
	s_waitcnt lgkmcnt(0)
	v_mul_f64 v[4:5], v[12:13], v[2:3]
	v_fmac_f64_e32 v[4:5], v[10:11], v[0:1]
	v_mul_f64 v[0:1], v[12:13], v[0:1]
	v_fma_f64 v[0:1], v[10:11], v[2:3], -v[0:1]
	v_mul_f64 v[6:7], v[0:1], s[2:3]
	ds_read_b128 v[0:3], v28 offset:19440
	v_accvgpr_read_b32 v10, a40
	v_mul_f64 v[4:5], v[4:5], s[2:3]
	v_add_u32_e32 v9, s4, v9
	v_accvgpr_read_b32 v12, a42
	v_accvgpr_read_b32 v13, a43
	global_store_dwordx4 v[8:9], v[4:7], off
	v_accvgpr_read_b32 v11, a41
	v_mad_u64_u32 v[8:9], s[6:7], s0, v35, v[8:9]
	s_waitcnt lgkmcnt(0)
	v_mul_f64 v[4:5], v[12:13], v[2:3]
	v_fmac_f64_e32 v[4:5], v[10:11], v[0:1]
	v_mul_f64 v[0:1], v[12:13], v[0:1]
	v_fma_f64 v[0:1], v[10:11], v[2:3], -v[0:1]
	v_mul_f64 v[6:7], v[0:1], s[2:3]
	ds_read_b128 v[0:3], v28 offset:27216
	v_mul_f64 v[4:5], v[4:5], s[2:3]
	v_add_u32_e32 v9, s4, v9
	global_store_dwordx4 v[8:9], v[4:7], off
	v_mad_u64_u32 v[8:9], s[6:7], s0, v35, v[8:9]
	s_waitcnt lgkmcnt(0)
	v_mul_f64 v[4:5], v[42:43], v[2:3]
	v_fmac_f64_e32 v[4:5], v[40:41], v[0:1]
	v_mul_f64 v[0:1], v[42:43], v[0:1]
	v_fma_f64 v[0:1], v[40:41], v[2:3], -v[0:1]
	v_mul_f64 v[6:7], v[0:1], s[2:3]
	ds_read_b128 v[0:3], v28 offset:34992
	v_mul_f64 v[4:5], v[4:5], s[2:3]
	v_add_u32_e32 v9, s4, v9
	global_store_dwordx4 v[8:9], v[4:7], off
	s_waitcnt lgkmcnt(0)
	s_nop 0
	v_mul_f64 v[4:5], v[46:47], v[2:3]
	v_fmac_f64_e32 v[4:5], v[44:45], v[0:1]
	v_mul_f64 v[0:1], v[46:47], v[0:1]
	v_fma_f64 v[0:1], v[44:45], v[2:3], -v[0:1]
	v_mul_f64 v[6:7], v[0:1], s[2:3]
	v_mad_u64_u32 v[0:1], s[6:7], s0, v35, v[8:9]
	v_mul_f64 v[4:5], v[4:5], s[2:3]
	v_add_u32_e32 v1, s4, v1
	global_store_dwordx4 v[0:1], v[4:7], off
	ds_read_b128 v[2:5], v28 offset:42768
	v_accvgpr_read_b32 v11, a7
	v_accvgpr_read_b32 v10, a6
	;; [unrolled: 1-line block ×4, first 2 shown]
	s_waitcnt lgkmcnt(0)
	v_mul_f64 v[6:7], v[10:11], v[4:5]
	v_fmac_f64_e32 v[6:7], v[8:9], v[2:3]
	v_mul_f64 v[2:3], v[10:11], v[2:3]
	v_fma_f64 v[2:3], v[8:9], v[4:5], -v[2:3]
	v_mad_u64_u32 v[0:1], s[0:1], s0, v35, v[0:1]
	v_mul_f64 v[6:7], v[6:7], s[2:3]
	v_mul_f64 v[8:9], v[2:3], s[2:3]
	v_add_u32_e32 v1, s4, v1
	global_store_dwordx4 v[0:1], v[6:9], off
.LBB0_2:
	s_endpgm
	.section	.rodata,"a",@progbits
	.p2align	6, 0x0
	.amdhsa_kernel bluestein_single_back_len2916_dim1_dp_op_CI_CI
		.amdhsa_group_segment_fixed_size 46656
		.amdhsa_private_segment_fixed_size 0
		.amdhsa_kernarg_size 104
		.amdhsa_user_sgpr_count 2
		.amdhsa_user_sgpr_dispatch_ptr 0
		.amdhsa_user_sgpr_queue_ptr 0
		.amdhsa_user_sgpr_kernarg_segment_ptr 1
		.amdhsa_user_sgpr_dispatch_id 0
		.amdhsa_user_sgpr_kernarg_preload_length 0
		.amdhsa_user_sgpr_kernarg_preload_offset 0
		.amdhsa_user_sgpr_private_segment_size 0
		.amdhsa_uses_dynamic_stack 0
		.amdhsa_enable_private_segment 0
		.amdhsa_system_sgpr_workgroup_id_x 1
		.amdhsa_system_sgpr_workgroup_id_y 0
		.amdhsa_system_sgpr_workgroup_id_z 0
		.amdhsa_system_sgpr_workgroup_info 0
		.amdhsa_system_vgpr_workitem_id 0
		.amdhsa_next_free_vgpr 307
		.amdhsa_next_free_sgpr 16
		.amdhsa_accum_offset 256
		.amdhsa_reserve_vcc 1
		.amdhsa_float_round_mode_32 0
		.amdhsa_float_round_mode_16_64 0
		.amdhsa_float_denorm_mode_32 3
		.amdhsa_float_denorm_mode_16_64 3
		.amdhsa_dx10_clamp 1
		.amdhsa_ieee_mode 1
		.amdhsa_fp16_overflow 0
		.amdhsa_tg_split 0
		.amdhsa_exception_fp_ieee_invalid_op 0
		.amdhsa_exception_fp_denorm_src 0
		.amdhsa_exception_fp_ieee_div_zero 0
		.amdhsa_exception_fp_ieee_overflow 0
		.amdhsa_exception_fp_ieee_underflow 0
		.amdhsa_exception_fp_ieee_inexact 0
		.amdhsa_exception_int_div_zero 0
	.end_amdhsa_kernel
	.text
.Lfunc_end0:
	.size	bluestein_single_back_len2916_dim1_dp_op_CI_CI, .Lfunc_end0-bluestein_single_back_len2916_dim1_dp_op_CI_CI
                                        ; -- End function
	.section	.AMDGPU.csdata,"",@progbits
; Kernel info:
; codeLenInByte = 16320
; NumSgprs: 22
; NumVgprs: 256
; NumAgprs: 51
; TotalNumVgprs: 307
; ScratchSize: 0
; MemoryBound: 0
; FloatMode: 240
; IeeeMode: 1
; LDSByteSize: 46656 bytes/workgroup (compile time only)
; SGPRBlocks: 2
; VGPRBlocks: 38
; NumSGPRsForWavesPerEU: 22
; NumVGPRsForWavesPerEU: 307
; AccumOffset: 256
; Occupancy: 1
; WaveLimiterHint : 1
; COMPUTE_PGM_RSRC2:SCRATCH_EN: 0
; COMPUTE_PGM_RSRC2:USER_SGPR: 2
; COMPUTE_PGM_RSRC2:TRAP_HANDLER: 0
; COMPUTE_PGM_RSRC2:TGID_X_EN: 1
; COMPUTE_PGM_RSRC2:TGID_Y_EN: 0
; COMPUTE_PGM_RSRC2:TGID_Z_EN: 0
; COMPUTE_PGM_RSRC2:TIDIG_COMP_CNT: 0
; COMPUTE_PGM_RSRC3_GFX90A:ACCUM_OFFSET: 63
; COMPUTE_PGM_RSRC3_GFX90A:TG_SPLIT: 0
	.text
	.p2alignl 6, 3212836864
	.fill 256, 4, 3212836864
	.type	__hip_cuid_3662eb957da5a759,@object ; @__hip_cuid_3662eb957da5a759
	.section	.bss,"aw",@nobits
	.globl	__hip_cuid_3662eb957da5a759
__hip_cuid_3662eb957da5a759:
	.byte	0                               ; 0x0
	.size	__hip_cuid_3662eb957da5a759, 1

	.ident	"AMD clang version 19.0.0git (https://github.com/RadeonOpenCompute/llvm-project roc-6.4.0 25133 c7fe45cf4b819c5991fe208aaa96edf142730f1d)"
	.section	".note.GNU-stack","",@progbits
	.addrsig
	.addrsig_sym __hip_cuid_3662eb957da5a759
	.amdgpu_metadata
---
amdhsa.kernels:
  - .agpr_count:     51
    .args:
      - .actual_access:  read_only
        .address_space:  global
        .offset:         0
        .size:           8
        .value_kind:     global_buffer
      - .actual_access:  read_only
        .address_space:  global
        .offset:         8
        .size:           8
        .value_kind:     global_buffer
      - .actual_access:  read_only
        .address_space:  global
        .offset:         16
        .size:           8
        .value_kind:     global_buffer
      - .actual_access:  read_only
        .address_space:  global
        .offset:         24
        .size:           8
        .value_kind:     global_buffer
      - .actual_access:  read_only
        .address_space:  global
        .offset:         32
        .size:           8
        .value_kind:     global_buffer
      - .offset:         40
        .size:           8
        .value_kind:     by_value
      - .address_space:  global
        .offset:         48
        .size:           8
        .value_kind:     global_buffer
      - .address_space:  global
        .offset:         56
        .size:           8
        .value_kind:     global_buffer
      - .address_space:  global
        .offset:         64
        .size:           8
        .value_kind:     global_buffer
      - .address_space:  global
        .offset:         72
        .size:           8
        .value_kind:     global_buffer
      - .offset:         80
        .size:           4
        .value_kind:     by_value
      - .address_space:  global
        .offset:         88
        .size:           8
        .value_kind:     global_buffer
      - .address_space:  global
        .offset:         96
        .size:           8
        .value_kind:     global_buffer
    .group_segment_fixed_size: 46656
    .kernarg_segment_align: 8
    .kernarg_segment_size: 104
    .language:       OpenCL C
    .language_version:
      - 2
      - 0
    .max_flat_workgroup_size: 243
    .name:           bluestein_single_back_len2916_dim1_dp_op_CI_CI
    .private_segment_fixed_size: 0
    .sgpr_count:     22
    .sgpr_spill_count: 0
    .symbol:         bluestein_single_back_len2916_dim1_dp_op_CI_CI.kd
    .uniform_work_group_size: 1
    .uses_dynamic_stack: false
    .vgpr_count:     307
    .vgpr_spill_count: 0
    .wavefront_size: 64
amdhsa.target:   amdgcn-amd-amdhsa--gfx950
amdhsa.version:
  - 1
  - 2
...

	.end_amdgpu_metadata
